;; amdgpu-corpus repo=ROCm/rocFFT kind=compiled arch=gfx1201 opt=O3
	.text
	.amdgcn_target "amdgcn-amd-amdhsa--gfx1201"
	.amdhsa_code_object_version 6
	.protected	fft_rtc_back_len819_factors_9_7_13_wgs_117_tpt_117_dp_ip_CI_sbrr_dirReg ; -- Begin function fft_rtc_back_len819_factors_9_7_13_wgs_117_tpt_117_dp_ip_CI_sbrr_dirReg
	.globl	fft_rtc_back_len819_factors_9_7_13_wgs_117_tpt_117_dp_ip_CI_sbrr_dirReg
	.p2align	8
	.type	fft_rtc_back_len819_factors_9_7_13_wgs_117_tpt_117_dp_ip_CI_sbrr_dirReg,@function
fft_rtc_back_len819_factors_9_7_13_wgs_117_tpt_117_dp_ip_CI_sbrr_dirReg: ; @fft_rtc_back_len819_factors_9_7_13_wgs_117_tpt_117_dp_ip_CI_sbrr_dirReg
; %bb.0:
	s_clause 0x2
	s_load_b64 s[12:13], s[0:1], 0x18
	s_load_b128 s[4:7], s[0:1], 0x0
	s_load_b64 s[10:11], s[0:1], 0x50
	v_mul_u32_u24_e32 v1, 0x231, v0
	v_mov_b32_e32 v3, 0
	s_delay_alu instid0(VALU_DEP_2) | instskip(NEXT) | instid1(VALU_DEP_1)
	v_lshrrev_b32_e32 v1, 16, v1
	v_add_nc_u32_e32 v5, ttmp9, v1
	v_mov_b32_e32 v1, 0
	v_mov_b32_e32 v2, 0
	;; [unrolled: 1-line block ×3, first 2 shown]
	s_wait_kmcnt 0x0
	s_load_b64 s[8:9], s[12:13], 0x0
	v_cmp_lt_u64_e64 s2, s[6:7], 2
	s_delay_alu instid0(VALU_DEP_1)
	s_and_b32 vcc_lo, exec_lo, s2
	s_cbranch_vccnz .LBB0_8
; %bb.1:
	s_load_b64 s[2:3], s[0:1], 0x10
	v_mov_b32_e32 v1, 0
	v_mov_b32_e32 v2, 0
	s_add_nc_u64 s[14:15], s[12:13], 8
	s_mov_b64 s[16:17], 1
	s_wait_kmcnt 0x0
	s_add_nc_u64 s[18:19], s[2:3], 8
	s_mov_b32 s3, 0
.LBB0_2:                                ; =>This Inner Loop Header: Depth=1
	s_load_b64 s[20:21], s[18:19], 0x0
                                        ; implicit-def: $vgpr7_vgpr8
	s_mov_b32 s2, exec_lo
	s_wait_kmcnt 0x0
	v_or_b32_e32 v4, s21, v6
	s_delay_alu instid0(VALU_DEP_1)
	v_cmpx_ne_u64_e32 0, v[3:4]
	s_wait_alu 0xfffe
	s_xor_b32 s22, exec_lo, s2
	s_cbranch_execz .LBB0_4
; %bb.3:                                ;   in Loop: Header=BB0_2 Depth=1
	s_cvt_f32_u32 s2, s20
	s_cvt_f32_u32 s23, s21
	s_sub_nc_u64 s[26:27], 0, s[20:21]
	s_wait_alu 0xfffe
	s_delay_alu instid0(SALU_CYCLE_1) | instskip(SKIP_1) | instid1(SALU_CYCLE_2)
	s_fmamk_f32 s2, s23, 0x4f800000, s2
	s_wait_alu 0xfffe
	v_s_rcp_f32 s2, s2
	s_delay_alu instid0(TRANS32_DEP_1) | instskip(SKIP_1) | instid1(SALU_CYCLE_2)
	s_mul_f32 s2, s2, 0x5f7ffffc
	s_wait_alu 0xfffe
	s_mul_f32 s23, s2, 0x2f800000
	s_wait_alu 0xfffe
	s_delay_alu instid0(SALU_CYCLE_2) | instskip(SKIP_1) | instid1(SALU_CYCLE_2)
	s_trunc_f32 s23, s23
	s_wait_alu 0xfffe
	s_fmamk_f32 s2, s23, 0xcf800000, s2
	s_cvt_u32_f32 s25, s23
	s_wait_alu 0xfffe
	s_delay_alu instid0(SALU_CYCLE_1) | instskip(SKIP_1) | instid1(SALU_CYCLE_2)
	s_cvt_u32_f32 s24, s2
	s_wait_alu 0xfffe
	s_mul_u64 s[28:29], s[26:27], s[24:25]
	s_wait_alu 0xfffe
	s_mul_hi_u32 s31, s24, s29
	s_mul_i32 s30, s24, s29
	s_mul_hi_u32 s2, s24, s28
	s_mul_i32 s33, s25, s28
	s_wait_alu 0xfffe
	s_add_nc_u64 s[30:31], s[2:3], s[30:31]
	s_mul_hi_u32 s23, s25, s28
	s_mul_hi_u32 s34, s25, s29
	s_add_co_u32 s2, s30, s33
	s_wait_alu 0xfffe
	s_add_co_ci_u32 s2, s31, s23
	s_mul_i32 s28, s25, s29
	s_add_co_ci_u32 s29, s34, 0
	s_wait_alu 0xfffe
	s_add_nc_u64 s[28:29], s[2:3], s[28:29]
	s_wait_alu 0xfffe
	v_add_co_u32 v4, s2, s24, s28
	s_delay_alu instid0(VALU_DEP_1) | instskip(SKIP_1) | instid1(VALU_DEP_1)
	s_cmp_lg_u32 s2, 0
	s_add_co_ci_u32 s25, s25, s29
	v_readfirstlane_b32 s24, v4
	s_wait_alu 0xfffe
	s_delay_alu instid0(VALU_DEP_1)
	s_mul_u64 s[26:27], s[26:27], s[24:25]
	s_wait_alu 0xfffe
	s_mul_hi_u32 s29, s24, s27
	s_mul_i32 s28, s24, s27
	s_mul_hi_u32 s2, s24, s26
	s_mul_i32 s30, s25, s26
	s_wait_alu 0xfffe
	s_add_nc_u64 s[28:29], s[2:3], s[28:29]
	s_mul_hi_u32 s23, s25, s26
	s_mul_hi_u32 s24, s25, s27
	s_wait_alu 0xfffe
	s_add_co_u32 s2, s28, s30
	s_add_co_ci_u32 s2, s29, s23
	s_mul_i32 s26, s25, s27
	s_add_co_ci_u32 s27, s24, 0
	s_wait_alu 0xfffe
	s_add_nc_u64 s[26:27], s[2:3], s[26:27]
	s_wait_alu 0xfffe
	v_add_co_u32 v4, s2, v4, s26
	s_delay_alu instid0(VALU_DEP_1) | instskip(SKIP_1) | instid1(VALU_DEP_1)
	s_cmp_lg_u32 s2, 0
	s_add_co_ci_u32 s2, s25, s27
	v_mul_hi_u32 v13, v5, v4
	s_wait_alu 0xfffe
	v_mad_co_u64_u32 v[7:8], null, v5, s2, 0
	v_mad_co_u64_u32 v[9:10], null, v6, v4, 0
	;; [unrolled: 1-line block ×3, first 2 shown]
	s_delay_alu instid0(VALU_DEP_3) | instskip(SKIP_1) | instid1(VALU_DEP_4)
	v_add_co_u32 v4, vcc_lo, v13, v7
	s_wait_alu 0xfffd
	v_add_co_ci_u32_e32 v7, vcc_lo, 0, v8, vcc_lo
	s_delay_alu instid0(VALU_DEP_2) | instskip(SKIP_1) | instid1(VALU_DEP_2)
	v_add_co_u32 v4, vcc_lo, v4, v9
	s_wait_alu 0xfffd
	v_add_co_ci_u32_e32 v4, vcc_lo, v7, v10, vcc_lo
	s_wait_alu 0xfffd
	v_add_co_ci_u32_e32 v7, vcc_lo, 0, v12, vcc_lo
	s_delay_alu instid0(VALU_DEP_2) | instskip(SKIP_1) | instid1(VALU_DEP_2)
	v_add_co_u32 v4, vcc_lo, v4, v11
	s_wait_alu 0xfffd
	v_add_co_ci_u32_e32 v9, vcc_lo, 0, v7, vcc_lo
	s_delay_alu instid0(VALU_DEP_2) | instskip(SKIP_1) | instid1(VALU_DEP_3)
	v_mul_lo_u32 v10, s21, v4
	v_mad_co_u64_u32 v[7:8], null, s20, v4, 0
	v_mul_lo_u32 v11, s20, v9
	s_delay_alu instid0(VALU_DEP_2) | instskip(NEXT) | instid1(VALU_DEP_2)
	v_sub_co_u32 v7, vcc_lo, v5, v7
	v_add3_u32 v8, v8, v11, v10
	s_delay_alu instid0(VALU_DEP_1) | instskip(SKIP_1) | instid1(VALU_DEP_1)
	v_sub_nc_u32_e32 v10, v6, v8
	s_wait_alu 0xfffd
	v_subrev_co_ci_u32_e64 v10, s2, s21, v10, vcc_lo
	v_add_co_u32 v11, s2, v4, 2
	s_wait_alu 0xf1ff
	v_add_co_ci_u32_e64 v12, s2, 0, v9, s2
	v_sub_co_u32 v13, s2, v7, s20
	v_sub_co_ci_u32_e32 v8, vcc_lo, v6, v8, vcc_lo
	s_wait_alu 0xf1ff
	v_subrev_co_ci_u32_e64 v10, s2, 0, v10, s2
	s_delay_alu instid0(VALU_DEP_3) | instskip(NEXT) | instid1(VALU_DEP_3)
	v_cmp_le_u32_e32 vcc_lo, s20, v13
	v_cmp_eq_u32_e64 s2, s21, v8
	s_wait_alu 0xfffd
	v_cndmask_b32_e64 v13, 0, -1, vcc_lo
	v_cmp_le_u32_e32 vcc_lo, s21, v10
	s_wait_alu 0xfffd
	v_cndmask_b32_e64 v14, 0, -1, vcc_lo
	v_cmp_le_u32_e32 vcc_lo, s20, v7
	;; [unrolled: 3-line block ×3, first 2 shown]
	s_wait_alu 0xfffd
	v_cndmask_b32_e64 v15, 0, -1, vcc_lo
	v_cmp_eq_u32_e32 vcc_lo, s21, v10
	s_wait_alu 0xf1ff
	s_delay_alu instid0(VALU_DEP_2)
	v_cndmask_b32_e64 v7, v15, v7, s2
	s_wait_alu 0xfffd
	v_cndmask_b32_e32 v10, v14, v13, vcc_lo
	v_add_co_u32 v13, vcc_lo, v4, 1
	s_wait_alu 0xfffd
	v_add_co_ci_u32_e32 v14, vcc_lo, 0, v9, vcc_lo
	s_delay_alu instid0(VALU_DEP_3) | instskip(SKIP_2) | instid1(VALU_DEP_3)
	v_cmp_ne_u32_e32 vcc_lo, 0, v10
	s_wait_alu 0xfffd
	v_cndmask_b32_e32 v10, v13, v11, vcc_lo
	v_cndmask_b32_e32 v8, v14, v12, vcc_lo
	v_cmp_ne_u32_e32 vcc_lo, 0, v7
	s_wait_alu 0xfffd
	s_delay_alu instid0(VALU_DEP_2)
	v_dual_cndmask_b32 v7, v4, v10 :: v_dual_cndmask_b32 v8, v9, v8
.LBB0_4:                                ;   in Loop: Header=BB0_2 Depth=1
	s_wait_alu 0xfffe
	s_and_not1_saveexec_b32 s2, s22
	s_cbranch_execz .LBB0_6
; %bb.5:                                ;   in Loop: Header=BB0_2 Depth=1
	v_cvt_f32_u32_e32 v4, s20
	s_sub_co_i32 s22, 0, s20
	s_delay_alu instid0(VALU_DEP_1) | instskip(NEXT) | instid1(TRANS32_DEP_1)
	v_rcp_iflag_f32_e32 v4, v4
	v_mul_f32_e32 v4, 0x4f7ffffe, v4
	s_delay_alu instid0(VALU_DEP_1) | instskip(SKIP_1) | instid1(VALU_DEP_1)
	v_cvt_u32_f32_e32 v4, v4
	s_wait_alu 0xfffe
	v_mul_lo_u32 v7, s22, v4
	s_delay_alu instid0(VALU_DEP_1) | instskip(NEXT) | instid1(VALU_DEP_1)
	v_mul_hi_u32 v7, v4, v7
	v_add_nc_u32_e32 v4, v4, v7
	s_delay_alu instid0(VALU_DEP_1) | instskip(NEXT) | instid1(VALU_DEP_1)
	v_mul_hi_u32 v4, v5, v4
	v_mul_lo_u32 v7, v4, s20
	v_add_nc_u32_e32 v8, 1, v4
	s_delay_alu instid0(VALU_DEP_2) | instskip(NEXT) | instid1(VALU_DEP_1)
	v_sub_nc_u32_e32 v7, v5, v7
	v_subrev_nc_u32_e32 v9, s20, v7
	v_cmp_le_u32_e32 vcc_lo, s20, v7
	s_wait_alu 0xfffd
	s_delay_alu instid0(VALU_DEP_2) | instskip(NEXT) | instid1(VALU_DEP_1)
	v_dual_cndmask_b32 v7, v7, v9 :: v_dual_cndmask_b32 v4, v4, v8
	v_cmp_le_u32_e32 vcc_lo, s20, v7
	s_delay_alu instid0(VALU_DEP_2) | instskip(SKIP_1) | instid1(VALU_DEP_1)
	v_add_nc_u32_e32 v8, 1, v4
	s_wait_alu 0xfffd
	v_dual_cndmask_b32 v7, v4, v8 :: v_dual_mov_b32 v8, v3
.LBB0_6:                                ;   in Loop: Header=BB0_2 Depth=1
	s_wait_alu 0xfffe
	s_or_b32 exec_lo, exec_lo, s2
	s_load_b64 s[22:23], s[14:15], 0x0
	s_delay_alu instid0(VALU_DEP_1)
	v_mul_lo_u32 v4, v8, s20
	v_mul_lo_u32 v11, v7, s21
	v_mad_co_u64_u32 v[9:10], null, v7, s20, 0
	s_add_nc_u64 s[16:17], s[16:17], 1
	s_add_nc_u64 s[14:15], s[14:15], 8
	s_wait_alu 0xfffe
	v_cmp_ge_u64_e64 s2, s[16:17], s[6:7]
	s_add_nc_u64 s[18:19], s[18:19], 8
	s_delay_alu instid0(VALU_DEP_2) | instskip(NEXT) | instid1(VALU_DEP_3)
	v_add3_u32 v4, v10, v11, v4
	v_sub_co_u32 v5, vcc_lo, v5, v9
	s_wait_alu 0xfffd
	s_delay_alu instid0(VALU_DEP_2) | instskip(SKIP_3) | instid1(VALU_DEP_2)
	v_sub_co_ci_u32_e32 v4, vcc_lo, v6, v4, vcc_lo
	s_and_b32 vcc_lo, exec_lo, s2
	s_wait_kmcnt 0x0
	v_mul_lo_u32 v6, s23, v5
	v_mul_lo_u32 v4, s22, v4
	v_mad_co_u64_u32 v[1:2], null, s22, v5, v[1:2]
	s_delay_alu instid0(VALU_DEP_1)
	v_add3_u32 v2, v6, v2, v4
	s_wait_alu 0xfffe
	s_cbranch_vccnz .LBB0_9
; %bb.7:                                ;   in Loop: Header=BB0_2 Depth=1
	v_dual_mov_b32 v5, v7 :: v_dual_mov_b32 v6, v8
	s_branch .LBB0_2
.LBB0_8:
	v_dual_mov_b32 v8, v6 :: v_dual_mov_b32 v7, v5
.LBB0_9:
	s_lshl_b64 s[2:3], s[6:7], 3
	v_mul_hi_u32 v3, 0x2302303, v0
	s_wait_alu 0xfffe
	s_add_nc_u64 s[2:3], s[12:13], s[2:3]
                                        ; implicit-def: $vgpr34_vgpr35
                                        ; implicit-def: $vgpr30_vgpr31
                                        ; implicit-def: $vgpr22_vgpr23
                                        ; implicit-def: $vgpr14_vgpr15
                                        ; implicit-def: $vgpr18_vgpr19
                                        ; implicit-def: $vgpr10_vgpr11
                                        ; implicit-def: $vgpr26_vgpr27
	s_load_b64 s[2:3], s[2:3], 0x0
	s_load_b64 s[0:1], s[0:1], 0x20
	s_delay_alu instid0(VALU_DEP_1) | instskip(NEXT) | instid1(VALU_DEP_1)
	v_mul_u32_u24_e32 v3, 0x75, v3
	v_sub_nc_u32_e32 v62, v0, v3
	s_wait_kmcnt 0x0
	v_mul_lo_u32 v4, s2, v8
	v_mul_lo_u32 v5, s3, v7
	v_mad_co_u64_u32 v[1:2], null, s2, v7, v[1:2]
	v_cmp_gt_u64_e32 vcc_lo, s[0:1], v[7:8]
	v_cmp_gt_u32_e64 s0, 0x5b, v62
                                        ; implicit-def: $vgpr6_vgpr7
	s_delay_alu instid0(VALU_DEP_1) | instskip(NEXT) | instid1(VALU_DEP_3)
	s_and_b32 s1, vcc_lo, s0
	v_add3_u32 v2, v5, v2, v4
	s_delay_alu instid0(VALU_DEP_1)
	v_lshlrev_b64_e32 v[52:53], 4, v[1:2]
                                        ; implicit-def: $vgpr2_vgpr3
	s_wait_alu 0xfffe
	s_and_saveexec_b32 s2, s1
	s_cbranch_execz .LBB0_11
; %bb.10:
	v_add_nc_u32_e32 v8, 0x5b, v62
	v_mad_co_u64_u32 v[0:1], null, s8, v62, 0
	v_add_nc_u32_e32 v10, 0xb6, v62
	v_add_nc_u32_e32 v22, 0x222, v62
	s_delay_alu instid0(VALU_DEP_4) | instskip(SKIP_1) | instid1(VALU_DEP_4)
	v_mad_co_u64_u32 v[2:3], null, s8, v8, 0
	v_add_nc_u32_e32 v11, 0x111, v62
	v_mad_co_u64_u32 v[4:5], null, s8, v10, 0
	s_delay_alu instid0(VALU_DEP_4) | instskip(SKIP_4) | instid1(VALU_DEP_4)
	v_mad_co_u64_u32 v[16:17], null, s8, v22, 0
	v_add_nc_u32_e32 v28, 0x27d, v62
	v_mad_co_u64_u32 v[6:7], null, s9, v62, v[1:2]
	v_mov_b32_e32 v1, v3
	v_mov_b32_e32 v3, v5
	v_mad_co_u64_u32 v[18:19], null, s8, v28, 0
	v_add_nc_u32_e32 v29, 0x2d8, v62
	s_delay_alu instid0(VALU_DEP_4) | instskip(SKIP_4) | instid1(VALU_DEP_4)
	v_mad_co_u64_u32 v[7:8], null, s9, v8, v[1:2]
	v_dual_mov_b32 v1, v6 :: v_dual_add_nc_u32 v14, 0x16c, v62
	v_mad_co_u64_u32 v[5:6], null, s9, v10, v[3:4]
	v_add_nc_u32_e32 v20, 0x1c7, v62
	v_mad_co_u64_u32 v[8:9], null, s8, v11, 0
	v_mad_co_u64_u32 v[12:13], null, s8, v14, 0
	v_mov_b32_e32 v3, v7
	v_lshlrev_b64_e32 v[0:1], 4, v[0:1]
	v_add_co_u32 v30, s1, s10, v52
	v_mov_b32_e32 v6, v9
	s_wait_alu 0xf1ff
	v_add_co_ci_u32_e64 v31, s1, s11, v53, s1
	v_mad_co_u64_u32 v[13:14], null, s9, v14, v[13:14]
	v_mad_co_u64_u32 v[14:15], null, s8, v20, 0
	;; [unrolled: 1-line block ×3, first 2 shown]
	v_lshlrev_b64_e32 v[2:3], 4, v[2:3]
	v_add_co_u32 v0, s1, v30, v0
	v_lshlrev_b64_e32 v[10:11], 4, v[4:5]
	v_mad_co_u64_u32 v[20:21], null, s9, v20, v[15:16]
	s_wait_alu 0xf1ff
	v_add_co_ci_u32_e64 v1, s1, v31, v1, s1
	v_add_co_u32 v6, s1, v30, v2
	v_lshlrev_b64_e32 v[8:9], 4, v[8:9]
	s_wait_alu 0xf1ff
	v_add_co_ci_u32_e64 v7, s1, v31, v3, s1
	v_mov_b32_e32 v15, v20
	v_mad_co_u64_u32 v[21:22], null, s9, v22, v[17:18]
	v_mad_co_u64_u32 v[22:23], null, s8, v29, 0
	v_add_co_u32 v10, s1, v30, v10
	v_lshlrev_b64_e32 v[12:13], 4, v[12:13]
	s_wait_alu 0xf1ff
	v_add_co_ci_u32_e64 v11, s1, v31, v11, s1
	v_mov_b32_e32 v17, v21
	v_mad_co_u64_u32 v[19:20], null, s9, v28, v[19:20]
	v_mov_b32_e32 v20, v23
	v_add_co_u32 v8, s1, v30, v8
	v_lshlrev_b64_e32 v[14:15], 4, v[14:15]
	s_wait_alu 0xf1ff
	v_add_co_ci_u32_e64 v9, s1, v31, v9, s1
	v_mad_co_u64_u32 v[20:21], null, s9, v29, v[20:21]
	v_add_co_u32 v12, s1, v30, v12
	v_lshlrev_b64_e32 v[16:17], 4, v[16:17]
	s_wait_alu 0xf1ff
	v_add_co_ci_u32_e64 v13, s1, v31, v13, s1
	v_add_co_u32 v14, s1, v30, v14
	v_mov_b32_e32 v23, v20
	s_wait_alu 0xf1ff
	v_add_co_ci_u32_e64 v15, s1, v31, v15, s1
	v_lshlrev_b64_e32 v[18:19], 4, v[18:19]
	v_add_co_u32 v20, s1, v30, v16
	s_wait_alu 0xf1ff
	v_add_co_ci_u32_e64 v21, s1, v31, v17, s1
	v_lshlrev_b64_e32 v[16:17], 4, v[22:23]
	s_delay_alu instid0(VALU_DEP_4)
	v_add_co_u32 v28, s1, v30, v18
	s_wait_alu 0xf1ff
	v_add_co_ci_u32_e64 v29, s1, v31, v19, s1
	s_clause 0x1
	global_load_b128 v[0:3], v[0:1], off
	global_load_b128 v[4:7], v[6:7], off
	v_add_co_u32 v32, s1, v30, v16
	s_wait_alu 0xf1ff
	v_add_co_ci_u32_e64 v33, s1, v31, v17, s1
	s_clause 0x6
	global_load_b128 v[24:27], v[10:11], off
	global_load_b128 v[8:11], v[8:9], off
	;; [unrolled: 1-line block ×7, first 2 shown]
.LBB0_11:
	s_wait_alu 0xfffe
	s_or_b32 exec_lo, exec_lo, s2
	s_wait_loadcnt 0x0
	v_add_f64_e64 v[38:39], v[4:5], -v[32:33]
	v_add_f64_e64 v[36:37], v[6:7], -v[34:35]
	v_add_f64_e32 v[32:33], v[32:33], v[4:5]
	v_add_f64_e32 v[34:35], v[34:35], v[6:7]
	v_add_f64_e64 v[42:43], v[16:17], -v[12:13]
	v_add_f64_e64 v[40:41], v[18:19], -v[14:15]
	v_add_f64_e32 v[44:45], v[12:13], v[16:17]
	v_add_f64_e32 v[46:47], v[14:15], v[18:19]
	s_mov_b32 s18, 0xa2cf5039
	s_mov_b32 s13, 0x3fe491b7
	;; [unrolled: 1-line block ×4, first 2 shown]
	v_add_f64_e32 v[48:49], v[28:29], v[24:25]
	v_add_f64_e32 v[56:57], v[30:31], v[26:27]
	v_add_f64_e64 v[28:29], v[24:25], -v[28:29]
	v_add_f64_e64 v[30:31], v[26:27], -v[30:31]
	s_mov_b32 s22, 0x8c811c17
	s_mov_b32 s20, 0x7e0b738b
	;; [unrolled: 1-line block ×4, first 2 shown]
	v_add_f64_e32 v[50:51], v[20:21], v[8:9]
	v_add_f64_e32 v[54:55], v[22:23], v[10:11]
	v_add_f64_e64 v[58:59], v[8:9], -v[20:21]
	v_add_f64_e64 v[60:61], v[10:11], -v[22:23]
	s_mov_b32 s2, 0xe8584cab
	s_mov_b32 s3, 0x3febb67a
	;; [unrolled: 1-line block ×3, first 2 shown]
	s_wait_alu 0xfffe
	s_mov_b32 s6, s2
	s_mov_b32 s14, 0x748a0bf8
	;; [unrolled: 1-line block ×5, first 2 shown]
	v_mul_f64_e32 v[4:5], s[12:13], v[38:39]
	v_mul_f64_e32 v[6:7], s[12:13], v[36:37]
	v_fma_f64 v[24:25], v[32:33], s[18:19], v[0:1]
	v_fma_f64 v[26:27], v[34:35], s[18:19], v[2:3]
	v_mul_f64_e32 v[63:64], s[12:13], v[42:43]
	v_mul_f64_e32 v[65:66], s[12:13], v[40:41]
	v_fma_f64 v[67:68], v[44:45], s[18:19], v[0:1]
	v_fma_f64 v[69:70], v[46:47], s[18:19], v[2:3]
	;; [unrolled: 1-line block ×6, first 2 shown]
	v_fma_f64 v[20:21], v[38:39], s[22:23], -v[63:64]
	v_fma_f64 v[22:23], v[36:37], s[22:23], -v[65:66]
	v_fma_f64 v[24:25], v[32:33], s[20:21], v[67:68]
	v_fma_f64 v[26:27], v[34:35], s[20:21], v[69:70]
	;; [unrolled: 1-line block ×4, first 2 shown]
	v_fma_f64 v[8:9], v[50:51], -0.5, v[8:9]
	v_fma_f64 v[10:11], v[54:55], -0.5, v[10:11]
	s_wait_alu 0xfffe
	v_fma_f64 v[20:21], v[58:59], s[6:7], v[20:21]
	v_fma_f64 v[22:23], v[60:61], s[6:7], v[22:23]
	v_fma_f64 v[24:25], v[50:51], -0.5, v[24:25]
	v_fma_f64 v[26:27], v[54:55], -0.5, v[26:27]
	v_fma_f64 v[4:5], v[42:43], s[14:15], v[4:5]
	v_fma_f64 v[6:7], v[40:41], s[14:15], v[6:7]
	;; [unrolled: 1-line block ×8, first 2 shown]
	v_add_f64_e64 v[20:21], v[8:9], -v[6:7]
	v_add_f64_e32 v[22:23], v[4:5], v[10:11]
	s_delay_alu instid0(VALU_DEP_4) | instskip(NEXT) | instid1(VALU_DEP_4)
	v_add_f64_e64 v[24:25], v[24:25], -v[65:66]
	v_add_f64_e32 v[26:27], v[63:64], v[26:27]
	s_delay_alu instid0(VALU_DEP_4) | instskip(NEXT) | instid1(VALU_DEP_4)
	v_fma_f64 v[8:9], v[6:7], 2.0, v[20:21]
	v_fma_f64 v[10:11], v[4:5], -2.0, v[22:23]
	s_delay_alu instid0(VALU_DEP_4) | instskip(NEXT) | instid1(VALU_DEP_4)
	v_fma_f64 v[4:5], v[65:66], 2.0, v[24:25]
	v_fma_f64 v[6:7], v[63:64], -2.0, v[26:27]
	s_and_saveexec_b32 s1, s0
	s_cbranch_execz .LBB0_13
; %bb.12:
	v_mul_f64_e32 v[63:64], s[22:23], v[42:43]
	v_fma_f64 v[65:66], v[56:57], s[18:19], v[2:3]
	v_mul_f64_e32 v[67:68], s[22:23], v[40:41]
	v_fma_f64 v[69:70], v[48:49], s[18:19], v[0:1]
	v_add_f64_e32 v[56:57], v[56:57], v[34:35]
	v_add_f64_e32 v[48:49], v[48:49], v[32:33]
	s_mov_b32 s13, 0xbfe491b7
	v_mul_f64_e32 v[58:59], s[2:3], v[58:59]
	v_mul_f64_e32 v[60:61], s[2:3], v[60:61]
	v_mul_f64_e32 v[71:72], 0.5, v[50:51]
	v_mul_f64_e32 v[73:74], 0.5, v[54:55]
	v_add_f64_e32 v[75:76], v[54:55], v[2:3]
	v_add_f64_e32 v[77:78], v[50:51], v[0:1]
	v_add_f64_e32 v[42:43], v[42:43], v[38:39]
	v_add_f64_e32 v[40:41], v[40:41], v[36:37]
	s_wait_alu 0xfffe
	v_fma_f64 v[63:64], v[28:29], s[12:13], -v[63:64]
	v_fma_f64 v[65:66], v[46:47], s[20:21], v[65:66]
	v_fma_f64 v[67:68], v[30:31], s[12:13], -v[67:68]
	v_fma_f64 v[69:70], v[44:45], s[20:21], v[69:70]
	v_add_f64_e32 v[54:55], v[54:55], v[56:57]
	v_add_f64_e32 v[50:51], v[50:51], v[48:49]
	;; [unrolled: 1-line block ×4, first 2 shown]
	v_add_f64_e64 v[28:29], v[42:43], -v[28:29]
	v_add_f64_e64 v[30:31], v[40:41], -v[30:31]
	v_add_f64_e32 v[48:49], v[58:59], v[63:64]
	v_add_f64_e64 v[56:57], v[65:66], -v[73:74]
	v_add_f64_e32 v[58:59], v[60:61], v[67:68]
	;; [unrolled: 2-line block ×3, first 2 shown]
	v_add_f64_e32 v[16:17], v[16:17], v[50:51]
	v_fma_f64 v[40:41], v[46:47], -0.5, v[75:76]
	v_fma_f64 v[42:43], v[44:45], -0.5, v[77:78]
	v_mul_f64_e32 v[44:45], s[2:3], v[28:29]
	v_mul_f64_e32 v[46:47], s[2:3], v[30:31]
	v_fma_f64 v[38:39], v[38:39], s[14:15], v[48:49]
	v_fma_f64 v[34:35], v[34:35], s[16:17], v[56:57]
	;; [unrolled: 1-line block ×4, first 2 shown]
	v_add_f64_e32 v[48:49], v[14:15], v[18:19]
	v_add_f64_e32 v[50:51], v[12:13], v[16:17]
	v_fma_f64 v[14:15], v[28:29], s[2:3], v[40:41]
	v_fma_f64 v[12:13], v[30:31], s[6:7], v[42:43]
	v_add_f64_e32 v[18:19], v[38:39], v[34:35]
	v_add_f64_e64 v[16:17], v[32:33], -v[36:37]
	v_add_f64_e32 v[2:3], v[2:3], v[48:49]
	v_add_f64_e32 v[0:1], v[0:1], v[50:51]
	v_fma_f64 v[30:31], v[44:45], -2.0, v[14:15]
	v_fma_f64 v[28:29], v[46:47], 2.0, v[12:13]
	v_fma_f64 v[34:35], v[38:39], -2.0, v[18:19]
	v_fma_f64 v[32:33], v[36:37], 2.0, v[16:17]
	v_mad_u32_u24 v36, 0x90, v62, 0
	ds_store_b128 v36, v[24:27] offset:32
	ds_store_b128 v36, v[12:15] offset:48
	ds_store_b128 v36, v[0:3]
	ds_store_b128 v36, v[20:23] offset:16
	ds_store_b128 v36, v[28:31] offset:96
	;; [unrolled: 1-line block ×6, first 2 shown]
.LBB0_13:
	s_wait_alu 0xfffe
	s_or_b32 exec_lo, exec_lo, s1
	v_and_b32_e32 v0, 0xff, v62
	global_wb scope:SCOPE_SE
	s_wait_dscnt 0x0
	s_barrier_signal -1
	s_barrier_wait -1
	global_inv scope:SCOPE_SE
	v_mul_lo_u16 v0, v0, 57
	v_lshl_add_u32 v40, v62, 4, 0
	s_mov_b32 s0, 0x37e14327
	s_mov_b32 s1, 0x3fe948f6
	;; [unrolled: 1-line block ×3, first 2 shown]
	v_lshrrev_b16 v51, 9, v0
	s_mov_b32 s6, 0xe976ee23
	s_mov_b32 s3, 0x3fac98ee
	;; [unrolled: 1-line block ×4, first 2 shown]
	v_mul_lo_u16 v0, v51, 9
	s_mov_b32 s12, 0x5476071b
	s_mov_b32 s15, 0xbfd5d0dc
	s_mov_b32 s14, 0xb247c609
	s_delay_alu instid0(VALU_DEP_1) | instskip(NEXT) | instid1(VALU_DEP_1)
	v_sub_nc_u16 v0, v62, v0
	v_and_b32_e32 v73, 0xff, v0
	s_delay_alu instid0(VALU_DEP_1) | instskip(NEXT) | instid1(VALU_DEP_1)
	v_mul_u32_u24_e32 v0, 6, v73
	v_lshlrev_b32_e32 v28, 4, v0
	s_clause 0x5
	global_load_b128 v[0:3], v28, s[4:5]
	global_load_b128 v[12:15], v28, s[4:5] offset:16
	global_load_b128 v[16:19], v28, s[4:5] offset:80
	;; [unrolled: 1-line block ×5, first 2 shown]
	ds_load_b128 v[32:35], v40 offset:1872
	ds_load_b128 v[36:39], v40 offset:3744
	;; [unrolled: 1-line block ×6, first 2 shown]
	s_wait_loadcnt_dscnt 0x505
	v_mul_f64_e32 v[49:50], v[34:35], v[2:3]
	v_mul_f64_e32 v[2:3], v[32:33], v[2:3]
	s_wait_loadcnt_dscnt 0x404
	v_mul_f64_e32 v[63:64], v[38:39], v[14:15]
	v_mul_f64_e32 v[14:15], v[36:37], v[14:15]
	;; [unrolled: 3-line block ×6, first 2 shown]
	v_fma_f64 v[32:33], v[32:33], v[0:1], v[49:50]
	v_fma_f64 v[0:1], v[34:35], v[0:1], -v[2:3]
	v_fma_f64 v[2:3], v[36:37], v[12:13], v[63:64]
	v_fma_f64 v[12:13], v[38:39], v[12:13], -v[14:15]
	;; [unrolled: 2-line block ×6, first 2 shown]
	v_add_f64_e32 v[30:31], v[32:33], v[14:15]
	v_add_f64_e32 v[34:35], v[0:1], v[16:17]
	;; [unrolled: 1-line block ×4, first 2 shown]
	v_add_f64_e64 v[18:19], v[2:3], -v[18:19]
	v_add_f64_e64 v[12:13], v[12:13], -v[20:21]
	v_add_f64_e32 v[41:42], v[22:23], v[26:27]
	v_add_f64_e32 v[43:44], v[24:25], v[28:29]
	v_add_f64_e64 v[20:21], v[26:27], -v[22:23]
	v_add_f64_e64 v[22:23], v[28:29], -v[24:25]
	;; [unrolled: 1-line block ×4, first 2 shown]
	v_add_f64_e32 v[0:1], v[36:37], v[30:31]
	v_add_f64_e32 v[2:3], v[38:39], v[34:35]
	v_add_f64_e64 v[24:25], v[30:31], -v[41:42]
	v_add_f64_e64 v[26:27], v[34:35], -v[43:44]
	v_add_f64_e64 v[28:29], v[41:42], -v[36:37]
	v_add_f64_e64 v[32:33], v[43:44], -v[38:39]
	v_add_f64_e64 v[45:46], v[20:21], -v[18:19]
	v_add_f64_e64 v[47:48], v[22:23], -v[12:13]
	v_add_f64_e64 v[49:50], v[18:19], -v[14:15]
	v_add_f64_e64 v[54:55], v[12:13], -v[16:17]
	v_add_f64_e64 v[30:31], v[36:37], -v[30:31]
	v_add_f64_e64 v[34:35], v[38:39], -v[34:35]
	v_add_f64_e32 v[18:19], v[20:21], v[18:19]
	v_add_f64_e32 v[12:13], v[22:23], v[12:13]
	v_add_f64_e64 v[20:21], v[14:15], -v[20:21]
	v_add_f64_e64 v[22:23], v[16:17], -v[22:23]
	v_add_f64_e32 v[41:42], v[41:42], v[0:1]
	v_add_f64_e32 v[43:44], v[43:44], v[2:3]
	ds_load_b128 v[0:3], v40
	global_wb scope:SCOPE_SE
	s_wait_dscnt 0x0
	s_wait_alu 0xfffe
	v_mul_f64_e32 v[24:25], s[0:1], v[24:25]
	v_mul_f64_e32 v[26:27], s[0:1], v[26:27]
	s_mov_b32 s0, 0x429ad128
	v_mul_f64_e32 v[36:37], s[2:3], v[28:29]
	v_mul_f64_e32 v[38:39], s[2:3], v[32:33]
	;; [unrolled: 1-line block ×4, first 2 shown]
	s_mov_b32 s1, 0xbfebfeb5
	s_mov_b32 s6, 0xaaaaaaaa
	s_wait_alu 0xfffe
	v_mul_f64_e32 v[56:57], s[0:1], v[49:50]
	v_mul_f64_e32 v[58:59], s[0:1], v[54:55]
	s_mov_b32 s7, 0xbff2aaaa
	v_add_f64_e32 v[14:15], v[18:19], v[14:15]
	v_add_f64_e32 v[12:13], v[12:13], v[16:17]
	s_barrier_signal -1
	s_barrier_wait -1
	global_inv scope:SCOPE_SE
	v_add_f64_e32 v[0:1], v[0:1], v[41:42]
	v_add_f64_e32 v[2:3], v[2:3], v[43:44]
	v_fma_f64 v[16:17], v[28:29], s[2:3], v[24:25]
	v_fma_f64 v[18:19], v[32:33], s[2:3], v[26:27]
	v_fma_f64 v[28:29], v[30:31], s[12:13], -v[36:37]
	v_fma_f64 v[32:33], v[34:35], s[12:13], -v[38:39]
	s_mov_b32 s13, 0xbfe77f67
	v_fma_f64 v[36:37], v[20:21], s[14:15], v[45:46]
	v_fma_f64 v[38:39], v[22:23], s[14:15], v[47:48]
	s_mov_b32 s15, 0x3fd5d0dc
	v_fma_f64 v[45:46], v[49:50], s[0:1], -v[45:46]
	v_fma_f64 v[47:48], v[54:55], s[0:1], -v[47:48]
	s_wait_alu 0xfffe
	v_fma_f64 v[20:21], v[20:21], s[14:15], -v[56:57]
	v_fma_f64 v[22:23], v[22:23], s[14:15], -v[58:59]
	;; [unrolled: 1-line block ×4, first 2 shown]
	s_mov_b32 s0, 0x37c3f68c
	s_mov_b32 s1, 0xbfdc38aa
	v_fma_f64 v[41:42], v[41:42], s[6:7], v[0:1]
	v_fma_f64 v[43:44], v[43:44], s[6:7], v[2:3]
	s_wait_alu 0xfffe
	v_fma_f64 v[30:31], v[14:15], s[0:1], v[36:37]
	v_fma_f64 v[34:35], v[12:13], s[0:1], v[38:39]
	;; [unrolled: 1-line block ×6, first 2 shown]
	v_cmp_gt_u32_e64 s0, 63, v62
	v_add_f64_e32 v[56:57], v[16:17], v[41:42]
	v_add_f64_e32 v[58:59], v[18:19], v[43:44]
	;; [unrolled: 1-line block ×6, first 2 shown]
	v_and_b32_e32 v28, 0xffff, v51
	v_lshlrev_b32_e32 v29, 4, v73
                                        ; implicit-def: $vgpr42_vgpr43
	s_delay_alu instid0(VALU_DEP_2) | instskip(NEXT) | instid1(VALU_DEP_1)
	v_mul_u32_u24_e32 v28, 0x3f0, v28
	v_add3_u32 v28, 0, v28, v29
	v_add_f64_e32 v[12:13], v[34:35], v[56:57]
	v_add_f64_e64 v[14:15], v[58:59], -v[30:31]
	v_add_f64_e32 v[36:37], v[54:55], v[24:25]
	v_add_f64_e64 v[38:39], v[26:27], -v[49:50]
	v_add_f64_e64 v[16:17], v[20:21], -v[47:48]
	v_add_f64_e32 v[18:19], v[45:46], v[22:23]
	v_add_f64_e32 v[20:21], v[47:48], v[20:21]
	v_add_f64_e64 v[22:23], v[22:23], -v[45:46]
	v_add_f64_e64 v[44:45], v[24:25], -v[54:55]
	v_add_f64_e32 v[46:47], v[49:50], v[26:27]
	v_add_f64_e64 v[24:25], v[56:57], -v[34:35]
	v_add_f64_e32 v[26:27], v[30:31], v[58:59]
                                        ; implicit-def: $vgpr50_vgpr51
                                        ; implicit-def: $vgpr34_vgpr35
                                        ; implicit-def: $vgpr30_vgpr31
	ds_store_b128 v28, v[0:3]
	ds_store_b128 v28, v[12:15] offset:144
	ds_store_b128 v28, v[36:39] offset:288
	;; [unrolled: 1-line block ×6, first 2 shown]
	global_wb scope:SCOPE_SE
	s_wait_dscnt 0x0
	s_barrier_signal -1
	s_barrier_wait -1
	global_inv scope:SCOPE_SE
	s_and_saveexec_b32 s1, s0
	s_cbranch_execnz .LBB0_16
; %bb.14:
	s_wait_alu 0xfffe
	s_or_b32 exec_lo, exec_lo, s1
	s_and_b32 s0, vcc_lo, s0
	s_wait_alu 0xfffe
	s_and_saveexec_b32 s1, s0
	s_cbranch_execnz .LBB0_17
.LBB0_15:
	s_endpgm
.LBB0_16:
	ds_load_b128 v[0:3], v40
	ds_load_b128 v[12:15], v40 offset:1008
	ds_load_b128 v[36:39], v40 offset:2016
	;; [unrolled: 1-line block ×12, first 2 shown]
	s_wait_alu 0xfffe
	s_or_b32 exec_lo, exec_lo, s1
	s_and_b32 s0, vcc_lo, s0
	s_wait_alu 0xfffe
	s_and_saveexec_b32 s1, s0
	s_cbranch_execz .LBB0_15
.LBB0_17:
	v_mul_u32_u24_e32 v54, 12, v62
	s_mov_b32 s14, 0x42a4c3d2
	s_mov_b32 s0, 0xe00740e9
	;; [unrolled: 1-line block ×4, first 2 shown]
	v_lshlrev_b32_e32 v75, 4, v54
	s_mov_b32 s1, 0x3fec55a7
	s_wait_alu 0xfffe
	s_mov_b32 s22, s14
	s_mov_b32 s2, 0x1ea71119
	;; [unrolled: 1-line block ×3, first 2 shown]
	s_clause 0x1
	global_load_b128 v[56:59], v75, s[4:5] offset:928
	global_load_b128 v[63:66], v75, s[4:5] offset:944
	s_mov_b32 s16, 0x66966769
	s_mov_b32 s17, 0x3fefc445
	;; [unrolled: 1-line block ×3, first 2 shown]
	s_wait_alu 0xfffe
	s_mov_b32 s26, s16
	s_mov_b32 s18, 0x2ef20147
	;; [unrolled: 1-line block ×11, first 2 shown]
	v_add_nc_u32_e32 v105, 63, v62
	s_mov_b32 s29, 0x3fe5384d
	s_wait_alu 0xfffe
	s_mov_b32 s28, s20
	v_add_nc_u32_e32 v125, 0x7e, v62
	s_mov_b32 s31, 0x3fedeba7
	s_mov_b32 s30, s18
	v_add_nc_u32_e32 v145, 0xbd, v62
	v_add_nc_u32_e32 v165, 0xfc, v62
	;; [unrolled: 1-line block ×3, first 2 shown]
	s_wait_loadcnt_dscnt 0x107
	v_mul_f64_e32 v[54:55], v[46:47], v[58:59]
	s_delay_alu instid0(VALU_DEP_1) | instskip(SKIP_1) | instid1(VALU_DEP_1)
	v_fma_f64 v[54:55], v[44:45], v[56:57], v[54:55]
	v_mul_f64_e32 v[44:45], v[44:45], v[58:59]
	v_fma_f64 v[44:45], v[46:47], v[56:57], -v[44:45]
	s_clause 0x1
	global_load_b128 v[56:59], v75, s[4:5] offset:880
	global_load_b128 v[67:70], v75, s[4:5] offset:864
	s_wait_loadcnt 0x1
	v_mul_f64_e32 v[46:47], v[38:39], v[58:59]
	s_delay_alu instid0(VALU_DEP_1) | instskip(SKIP_1) | instid1(VALU_DEP_1)
	v_fma_f64 v[46:47], v[36:37], v[56:57], v[46:47]
	v_mul_f64_e32 v[36:37], v[36:37], v[58:59]
	v_fma_f64 v[36:37], v[38:39], v[56:57], -v[36:37]
	s_clause 0x1
	global_load_b128 v[56:59], v75, s[4:5] offset:1024
	global_load_b128 v[71:74], v75, s[4:5] offset:1040
	s_wait_loadcnt_dscnt 0x101
	v_mul_f64_e32 v[38:39], v[50:51], v[58:59]
	s_delay_alu instid0(VALU_DEP_1) | instskip(SKIP_1) | instid1(VALU_DEP_1)
	v_fma_f64 v[38:39], v[48:49], v[56:57], v[38:39]
	v_mul_f64_e32 v[48:49], v[48:49], v[58:59]
	v_fma_f64 v[48:49], v[50:51], v[56:57], -v[48:49]
	v_mul_f64_e32 v[50:51], v[14:15], v[69:70]
	s_delay_alu instid0(VALU_DEP_1) | instskip(SKIP_1) | instid1(VALU_DEP_1)
	v_fma_f64 v[50:51], v[12:13], v[67:68], v[50:51]
	v_mul_f64_e32 v[12:13], v[12:13], v[69:70]
	v_fma_f64 v[56:57], v[14:15], v[67:68], -v[12:13]
	s_clause 0x1
	global_load_b128 v[58:61], v75, s[4:5] offset:976
	global_load_b128 v[67:70], v75, s[4:5] offset:960
	s_wait_loadcnt_dscnt 0x200
	v_mul_f64_e32 v[12:13], v[42:43], v[73:74]
	s_delay_alu instid0(VALU_DEP_1) | instskip(SKIP_1) | instid1(VALU_DEP_1)
	v_fma_f64 v[14:15], v[40:41], v[71:72], v[12:13]
	v_mul_f64_e32 v[12:13], v[40:41], v[73:74]
	v_fma_f64 v[40:41], v[42:43], v[71:72], -v[12:13]
	s_wait_loadcnt 0x1
	v_mul_f64_e32 v[12:13], v[10:11], v[60:61]
	s_delay_alu instid0(VALU_DEP_1) | instskip(SKIP_1) | instid1(VALU_DEP_1)
	v_fma_f64 v[12:13], v[8:9], v[58:59], v[12:13]
	v_mul_f64_e32 v[8:9], v[8:9], v[60:61]
	v_fma_f64 v[8:9], v[10:11], v[58:59], -v[8:9]
	s_clause 0x1
	global_load_b128 v[58:61], v75, s[4:5] offset:896
	global_load_b128 v[71:74], v75, s[4:5] offset:912
	s_wait_loadcnt 0x1
	v_mul_f64_e32 v[10:11], v[18:19], v[60:61]
	s_delay_alu instid0(VALU_DEP_1) | instskip(SKIP_1) | instid1(VALU_DEP_1)
	v_fma_f64 v[10:11], v[16:17], v[58:59], v[10:11]
	v_mul_f64_e32 v[16:17], v[16:17], v[60:61]
	v_fma_f64 v[16:17], v[18:19], v[58:59], -v[16:17]
	s_clause 0x1
	global_load_b128 v[58:61], v75, s[4:5] offset:1008
	global_load_b128 v[75:78], v75, s[4:5] offset:992
	s_mov_b32 s5, 0x3fddbe06
	s_mov_b32 s4, 0x4267c47c
	s_wait_loadcnt 0x1
	v_mul_f64_e32 v[18:19], v[34:35], v[60:61]
	s_delay_alu instid0(VALU_DEP_1) | instskip(SKIP_1) | instid1(VALU_DEP_1)
	v_fma_f64 v[42:43], v[32:33], v[58:59], v[18:19]
	v_mul_f64_e32 v[18:19], v[32:33], v[60:61]
	v_fma_f64 v[32:33], v[34:35], v[58:59], -v[18:19]
	v_mul_f64_e32 v[18:19], v[22:23], v[73:74]
	s_delay_alu instid0(VALU_DEP_1) | instskip(SKIP_1) | instid1(VALU_DEP_1)
	v_fma_f64 v[18:19], v[20:21], v[71:72], v[18:19]
	v_mul_f64_e32 v[20:21], v[20:21], v[73:74]
	v_fma_f64 v[34:35], v[22:23], v[71:72], -v[20:21]
	s_wait_loadcnt 0x0
	v_mul_f64_e32 v[20:21], v[30:31], v[77:78]
	s_delay_alu instid0(VALU_DEP_1) | instskip(SKIP_1) | instid1(VALU_DEP_1)
	v_fma_f64 v[22:23], v[28:29], v[75:76], v[20:21]
	v_mul_f64_e32 v[20:21], v[28:29], v[77:78]
	v_fma_f64 v[28:29], v[30:31], v[75:76], -v[20:21]
	v_mul_f64_e32 v[20:21], v[26:27], v[65:66]
	v_add_f64_e32 v[30:31], v[0:1], v[50:51]
	s_delay_alu instid0(VALU_DEP_2) | instskip(SKIP_1) | instid1(VALU_DEP_3)
	v_fma_f64 v[20:21], v[24:25], v[63:64], v[20:21]
	v_mul_f64_e32 v[24:25], v[24:25], v[65:66]
	v_add_f64_e32 v[30:31], v[46:47], v[30:31]
	s_delay_alu instid0(VALU_DEP_2) | instskip(SKIP_1) | instid1(VALU_DEP_3)
	v_fma_f64 v[26:27], v[26:27], v[63:64], -v[24:25]
	v_mul_f64_e32 v[24:25], v[6:7], v[69:70]
	v_add_f64_e32 v[30:31], v[10:11], v[30:31]
	s_delay_alu instid0(VALU_DEP_2) | instskip(SKIP_1) | instid1(VALU_DEP_3)
	v_fma_f64 v[24:25], v[4:5], v[67:68], v[24:25]
	v_mul_f64_e32 v[4:5], v[4:5], v[69:70]
	v_add_f64_e32 v[30:31], v[18:19], v[30:31]
	s_delay_alu instid0(VALU_DEP_2) | instskip(SKIP_1) | instid1(VALU_DEP_3)
	v_fma_f64 v[4:5], v[6:7], v[67:68], -v[4:5]
	v_add_f64_e32 v[6:7], v[2:3], v[56:57]
	v_add_f64_e32 v[30:31], v[54:55], v[30:31]
	s_delay_alu instid0(VALU_DEP_2) | instskip(NEXT) | instid1(VALU_DEP_2)
	v_add_f64_e32 v[6:7], v[36:37], v[6:7]
	v_add_f64_e32 v[30:31], v[20:21], v[30:31]
	s_delay_alu instid0(VALU_DEP_2) | instskip(NEXT) | instid1(VALU_DEP_2)
	v_add_f64_e32 v[6:7], v[16:17], v[6:7]
	v_add_f64_e32 v[30:31], v[24:25], v[30:31]
	s_delay_alu instid0(VALU_DEP_2) | instskip(NEXT) | instid1(VALU_DEP_2)
	v_add_f64_e32 v[6:7], v[34:35], v[6:7]
	v_add_f64_e32 v[30:31], v[12:13], v[30:31]
	s_delay_alu instid0(VALU_DEP_2) | instskip(NEXT) | instid1(VALU_DEP_2)
	v_add_f64_e32 v[6:7], v[44:45], v[6:7]
	v_add_f64_e32 v[30:31], v[22:23], v[30:31]
	s_delay_alu instid0(VALU_DEP_2) | instskip(NEXT) | instid1(VALU_DEP_2)
	v_add_f64_e32 v[6:7], v[26:27], v[6:7]
	v_add_f64_e32 v[30:31], v[42:43], v[30:31]
	s_delay_alu instid0(VALU_DEP_2) | instskip(NEXT) | instid1(VALU_DEP_2)
	v_add_f64_e32 v[6:7], v[4:5], v[6:7]
	v_add_f64_e32 v[30:31], v[38:39], v[30:31]
	s_delay_alu instid0(VALU_DEP_2) | instskip(NEXT) | instid1(VALU_DEP_2)
	v_add_f64_e32 v[6:7], v[8:9], v[6:7]
	v_add_f64_e32 v[58:59], v[14:15], v[30:31]
	v_mad_co_u64_u32 v[30:31], null, s8, v62, 0
	s_delay_alu instid0(VALU_DEP_3) | instskip(NEXT) | instid1(VALU_DEP_1)
	v_add_f64_e32 v[6:7], v[28:29], v[6:7]
	v_add_f64_e32 v[6:7], v[32:33], v[6:7]
	s_delay_alu instid0(VALU_DEP_1) | instskip(NEXT) | instid1(VALU_DEP_1)
	v_add_f64_e32 v[6:7], v[48:49], v[6:7]
	v_add_f64_e32 v[60:61], v[40:41], v[6:7]
	v_mov_b32_e32 v6, v31
	s_delay_alu instid0(VALU_DEP_1) | instskip(NEXT) | instid1(VALU_DEP_1)
	v_mad_co_u64_u32 v[6:7], null, s9, v62, v[6:7]
	v_mov_b32_e32 v31, v6
	v_add_co_u32 v6, vcc_lo, s10, v52
	s_wait_alu 0xfffd
	v_add_co_ci_u32_e32 v7, vcc_lo, s11, v53, vcc_lo
	s_delay_alu instid0(VALU_DEP_3)
	v_lshlrev_b64_e32 v[30:31], 4, v[30:31]
	v_add_f64_e64 v[52:53], v[50:51], -v[14:15]
	v_add_f64_e32 v[14:15], v[50:51], v[14:15]
	v_add_f64_e64 v[50:51], v[36:37], -v[48:49]
	v_add_f64_e32 v[36:37], v[36:37], v[48:49]
	v_add_f64_e64 v[48:49], v[46:47], -v[38:39]
	v_add_co_u32 v30, vcc_lo, v6, v30
	s_wait_alu 0xfffd
	v_add_co_ci_u32_e32 v31, vcc_lo, v7, v31, vcc_lo
	v_add_f64_e32 v[38:39], v[46:47], v[38:39]
	v_add_f64_e64 v[46:47], v[16:17], -v[32:33]
	v_add_f64_e32 v[32:33], v[16:17], v[32:33]
	v_add_f64_e64 v[16:17], v[10:11], -v[42:43]
	v_add_f64_e32 v[42:43], v[10:11], v[42:43]
	s_mov_b32 s10, 0x93053d00
	s_mov_b32 s11, 0xbfef11f4
	global_store_b128 v[30:31], v[58:61], off
	v_add_f64_e64 v[30:31], v[56:57], -v[40:41]
	v_add_f64_e32 v[40:41], v[56:57], v[40:41]
	v_add_f64_e64 v[56:57], v[34:35], -v[28:29]
	v_add_f64_e32 v[28:29], v[34:35], v[28:29]
	;; [unrolled: 2-line block ×3, first 2 shown]
	v_add_f64_e64 v[18:19], v[44:45], -v[8:9]
	v_add_f64_e64 v[58:59], v[26:27], -v[4:5]
	v_add_f64_e32 v[4:5], v[26:27], v[4:5]
	v_add_f64_e64 v[26:27], v[20:21], -v[24:25]
	v_add_f64_e32 v[20:21], v[20:21], v[24:25]
	;; [unrolled: 2-line block ×3, first 2 shown]
	v_add_f64_e32 v[44:45], v[44:45], v[8:9]
	v_mul_f64_e32 v[60:61], s[4:5], v[50:51]
	v_mul_f64_e32 v[85:86], s[22:23], v[50:51]
	;; [unrolled: 1-line block ×6, first 2 shown]
	s_wait_alu 0xfffe
	v_mul_f64_e32 v[149:150], s[28:29], v[50:51]
	v_mul_f64_e32 v[50:51], s[16:17], v[50:51]
	;; [unrolled: 1-line block ×15, first 2 shown]
	s_mov_b32 s5, 0xbfddbe06
	v_mul_f64_e32 v[141:142], s[20:21], v[26:27]
	s_wait_alu 0xfffe
	v_mul_f64_e32 v[79:80], s[4:5], v[52:53]
	v_mul_f64_e32 v[83:84], s[4:5], v[30:31]
	s_mov_b32 s4, 0xebaa3ed8
	s_mov_b32 s5, 0x3fbedb7d
	v_mul_f64_e32 v[143:144], s[20:21], v[58:59]
	v_mul_f64_e32 v[161:162], s[14:15], v[26:27]
	;; [unrolled: 1-line block ×4, first 2 shown]
	v_fma_f64 v[87:88], v[38:39], s[2:3], v[85:86]
	v_mul_f64_e32 v[179:180], s[18:19], v[58:59]
	v_fma_f64 v[10:11], v[36:37], s[2:3], -v[81:82]
	v_fma_f64 v[111:112], v[38:39], s[12:13], v[109:110]
	v_fma_f64 v[131:132], v[38:39], s[10:11], v[129:130]
	;; [unrolled: 1-line block ×3, first 2 shown]
	s_wait_alu 0xfffe
	v_fma_f64 v[167:168], v[38:39], s[4:5], v[50:51]
	v_mul_f64_e32 v[26:27], s[16:17], v[26:27]
	v_fma_f64 v[8:9], v[40:41], s[0:1], -v[79:80]
	s_delay_alu instid0(VALU_DEP_1) | instskip(NEXT) | instid1(VALU_DEP_1)
	v_add_f64_e32 v[8:9], v[2:3], v[8:9]
	v_add_f64_e32 v[8:9], v[10:11], v[8:9]
	v_fma_f64 v[10:11], v[14:15], s[0:1], v[83:84]
	s_delay_alu instid0(VALU_DEP_1) | instskip(NEXT) | instid1(VALU_DEP_1)
	v_add_f64_e32 v[10:11], v[0:1], v[10:11]
	v_add_f64_e32 v[10:11], v[87:88], v[10:11]
	v_mul_f64_e32 v[87:88], s[26:27], v[16:17]
	s_delay_alu instid0(VALU_DEP_1) | instskip(NEXT) | instid1(VALU_DEP_1)
	v_fma_f64 v[89:90], v[32:33], s[4:5], -v[87:88]
	v_add_f64_e32 v[8:9], v[89:90], v[8:9]
	v_mul_f64_e32 v[89:90], s[26:27], v[46:47]
	s_delay_alu instid0(VALU_DEP_1) | instskip(NEXT) | instid1(VALU_DEP_1)
	v_fma_f64 v[91:92], v[42:43], s[4:5], v[89:90]
	v_add_f64_e32 v[10:11], v[91:92], v[10:11]
	v_mul_f64_e32 v[91:92], s[18:19], v[34:35]
	s_delay_alu instid0(VALU_DEP_1) | instskip(NEXT) | instid1(VALU_DEP_1)
	v_fma_f64 v[93:94], v[28:29], s[12:13], -v[91:92]
	v_add_f64_e32 v[8:9], v[93:94], v[8:9]
	v_mul_f64_e32 v[93:94], s[18:19], v[56:57]
	s_delay_alu instid0(VALU_DEP_1) | instskip(NEXT) | instid1(VALU_DEP_1)
	v_fma_f64 v[95:96], v[22:23], s[12:13], v[93:94]
	;; [unrolled: 8-line block ×3, first 2 shown]
	v_add_f64_e32 v[99:100], v[99:100], v[10:11]
	v_fma_f64 v[10:11], v[4:5], s[10:11], -v[101:102]
	s_delay_alu instid0(VALU_DEP_1) | instskip(SKIP_1) | instid1(VALU_DEP_1)
	v_add_f64_e32 v[10:11], v[10:11], v[8:9]
	v_fma_f64 v[8:9], v[20:21], s[10:11], v[103:104]
	v_add_f64_e32 v[8:9], v[8:9], v[99:100]
	v_mad_co_u64_u32 v[99:100], null, s8, v105, 0
	s_delay_alu instid0(VALU_DEP_1) | instskip(NEXT) | instid1(VALU_DEP_1)
	v_mad_co_u64_u32 v[105:106], null, s9, v105, v[100:101]
	v_mov_b32_e32 v100, v105
	v_mul_f64_e32 v[105:106], s[18:19], v[48:49]
	s_delay_alu instid0(VALU_DEP_2) | instskip(NEXT) | instid1(VALU_DEP_1)
	v_lshlrev_b64_e32 v[99:100], 4, v[99:100]
	v_add_co_u32 v99, vcc_lo, v6, v99
	s_wait_alu 0xfffd
	s_delay_alu instid0(VALU_DEP_2) | instskip(SKIP_3) | instid1(VALU_DEP_2)
	v_add_co_ci_u32_e32 v100, vcc_lo, v7, v100, vcc_lo
	global_store_b128 v[99:100], v[8:11], off
	v_mul_f64_e32 v[99:100], s[22:23], v[52:53]
	v_fma_f64 v[10:11], v[36:37], s[12:13], -v[105:106]
	v_fma_f64 v[8:9], v[40:41], s[2:3], -v[99:100]
	v_fma_f64 v[99:100], v[40:41], s[2:3], v[99:100]
	s_delay_alu instid0(VALU_DEP_2) | instskip(NEXT) | instid1(VALU_DEP_2)
	v_add_f64_e32 v[8:9], v[2:3], v[8:9]
	v_add_f64_e32 v[99:100], v[2:3], v[99:100]
	s_delay_alu instid0(VALU_DEP_2) | instskip(SKIP_2) | instid1(VALU_DEP_2)
	v_add_f64_e32 v[8:9], v[10:11], v[8:9]
	v_fma_f64 v[10:11], v[14:15], s[2:3], v[107:108]
	v_fma_f64 v[107:108], v[14:15], s[2:3], -v[107:108]
	v_add_f64_e32 v[10:11], v[0:1], v[10:11]
	s_delay_alu instid0(VALU_DEP_2) | instskip(NEXT) | instid1(VALU_DEP_2)
	v_add_f64_e32 v[107:108], v[0:1], v[107:108]
	v_add_f64_e32 v[10:11], v[111:112], v[10:11]
	v_mul_f64_e32 v[111:112], s[24:25], v[16:17]
	s_delay_alu instid0(VALU_DEP_1) | instskip(NEXT) | instid1(VALU_DEP_1)
	v_fma_f64 v[113:114], v[32:33], s[10:11], -v[111:112]
	v_add_f64_e32 v[8:9], v[113:114], v[8:9]
	v_mul_f64_e32 v[113:114], s[24:25], v[46:47]
	s_delay_alu instid0(VALU_DEP_1) | instskip(NEXT) | instid1(VALU_DEP_1)
	v_fma_f64 v[115:116], v[42:43], s[10:11], v[113:114]
	v_add_f64_e32 v[10:11], v[115:116], v[10:11]
	v_mul_f64_e32 v[115:116], s[28:29], v[34:35]
	s_delay_alu instid0(VALU_DEP_1) | instskip(NEXT) | instid1(VALU_DEP_1)
	v_fma_f64 v[117:118], v[28:29], s[6:7], -v[115:116]
	v_add_f64_e32 v[8:9], v[117:118], v[8:9]
	v_mul_f64_e32 v[117:118], s[28:29], v[56:57]
	s_delay_alu instid0(VALU_DEP_1) | instskip(NEXT) | instid1(VALU_DEP_1)
	v_fma_f64 v[119:120], v[22:23], s[6:7], v[117:118]
	;; [unrolled: 8-line block ×3, first 2 shown]
	v_add_f64_e32 v[123:124], v[123:124], v[10:11]
	v_fma_f64 v[10:11], v[4:5], s[0:1], -v[75:76]
	s_delay_alu instid0(VALU_DEP_1) | instskip(SKIP_1) | instid1(VALU_DEP_1)
	v_add_f64_e32 v[10:11], v[10:11], v[8:9]
	v_fma_f64 v[8:9], v[20:21], s[0:1], v[77:78]
	v_add_f64_e32 v[8:9], v[8:9], v[123:124]
	v_mad_co_u64_u32 v[123:124], null, s8, v125, 0
	s_delay_alu instid0(VALU_DEP_1) | instskip(SKIP_1) | instid1(VALU_DEP_2)
	v_mad_co_u64_u32 v[124:125], null, s9, v125, v[124:125]
	v_mul_f64_e32 v[125:126], s[24:25], v[48:49]
	v_lshlrev_b64_e32 v[123:124], 4, v[123:124]
	s_delay_alu instid0(VALU_DEP_1) | instskip(SKIP_1) | instid1(VALU_DEP_2)
	v_add_co_u32 v123, vcc_lo, v6, v123
	s_wait_alu 0xfffd
	v_add_co_ci_u32_e32 v124, vcc_lo, v7, v124, vcc_lo
	global_store_b128 v[123:124], v[8:11], off
	v_mul_f64_e32 v[123:124], s[26:27], v[52:53]
	v_fma_f64 v[10:11], v[36:37], s[10:11], -v[125:126]
	s_delay_alu instid0(VALU_DEP_2) | instskip(SKIP_1) | instid1(VALU_DEP_2)
	v_fma_f64 v[8:9], v[40:41], s[4:5], -v[123:124]
	v_fma_f64 v[123:124], v[40:41], s[4:5], v[123:124]
	v_add_f64_e32 v[8:9], v[2:3], v[8:9]
	s_delay_alu instid0(VALU_DEP_2) | instskip(NEXT) | instid1(VALU_DEP_2)
	v_add_f64_e32 v[123:124], v[2:3], v[123:124]
	v_add_f64_e32 v[8:9], v[10:11], v[8:9]
	v_fma_f64 v[10:11], v[14:15], s[4:5], v[127:128]
	v_fma_f64 v[127:128], v[14:15], s[4:5], -v[127:128]
	s_delay_alu instid0(VALU_DEP_2) | instskip(NEXT) | instid1(VALU_DEP_2)
	v_add_f64_e32 v[10:11], v[0:1], v[10:11]
	v_add_f64_e32 v[127:128], v[0:1], v[127:128]
	s_delay_alu instid0(VALU_DEP_2) | instskip(SKIP_1) | instid1(VALU_DEP_1)
	v_add_f64_e32 v[10:11], v[131:132], v[10:11]
	v_mul_f64_e32 v[131:132], s[30:31], v[16:17]
	v_fma_f64 v[133:134], v[32:33], s[12:13], -v[131:132]
	s_delay_alu instid0(VALU_DEP_1) | instskip(SKIP_1) | instid1(VALU_DEP_1)
	v_add_f64_e32 v[8:9], v[133:134], v[8:9]
	v_mul_f64_e32 v[133:134], s[30:31], v[46:47]
	v_fma_f64 v[135:136], v[42:43], s[12:13], v[133:134]
	s_delay_alu instid0(VALU_DEP_1) | instskip(SKIP_1) | instid1(VALU_DEP_1)
	v_add_f64_e32 v[10:11], v[135:136], v[10:11]
	v_fma_f64 v[135:136], v[28:29], s[0:1], -v[71:72]
	v_add_f64_e32 v[8:9], v[135:136], v[8:9]
	v_fma_f64 v[135:136], v[22:23], s[0:1], v[73:74]
	s_delay_alu instid0(VALU_DEP_1) | instskip(SKIP_1) | instid1(VALU_DEP_1)
	v_add_f64_e32 v[10:11], v[135:136], v[10:11]
	v_mul_f64_e32 v[135:136], s[22:23], v[24:25]
	v_fma_f64 v[137:138], v[44:45], s[2:3], -v[135:136]
	s_delay_alu instid0(VALU_DEP_1) | instskip(SKIP_1) | instid1(VALU_DEP_1)
	v_add_f64_e32 v[8:9], v[137:138], v[8:9]
	v_mul_f64_e32 v[137:138], s[22:23], v[18:19]
	v_fma_f64 v[139:140], v[54:55], s[2:3], v[137:138]
	s_delay_alu instid0(VALU_DEP_1) | instskip(SKIP_1) | instid1(VALU_DEP_1)
	v_add_f64_e32 v[139:140], v[139:140], v[10:11]
	v_fma_f64 v[10:11], v[4:5], s[6:7], -v[141:142]
	v_add_f64_e32 v[10:11], v[10:11], v[8:9]
	v_fma_f64 v[8:9], v[20:21], s[6:7], v[143:144]
	s_delay_alu instid0(VALU_DEP_1) | instskip(SKIP_1) | instid1(VALU_DEP_1)
	v_add_f64_e32 v[8:9], v[8:9], v[139:140]
	v_mad_co_u64_u32 v[139:140], null, s8, v145, 0
	v_mad_co_u64_u32 v[145:146], null, s9, v145, v[140:141]
	s_delay_alu instid0(VALU_DEP_1) | instskip(SKIP_2) | instid1(VALU_DEP_3)
	v_mov_b32_e32 v140, v145
	v_mul_f64_e32 v[145:146], s[28:29], v[48:49]
	v_mul_f64_e32 v[48:49], s[16:17], v[48:49]
	v_lshlrev_b64_e32 v[139:140], 4, v[139:140]
	s_delay_alu instid0(VALU_DEP_1) | instskip(SKIP_1) | instid1(VALU_DEP_2)
	v_add_co_u32 v139, vcc_lo, v6, v139
	s_wait_alu 0xfffd
	v_add_co_ci_u32_e32 v140, vcc_lo, v7, v140, vcc_lo
	global_store_b128 v[139:140], v[8:11], off
	v_mul_f64_e32 v[139:140], s[18:19], v[52:53]
	v_fma_f64 v[10:11], v[36:37], s[6:7], -v[145:146]
	s_delay_alu instid0(VALU_DEP_2) | instskip(SKIP_1) | instid1(VALU_DEP_2)
	v_fma_f64 v[8:9], v[40:41], s[12:13], -v[139:140]
	v_fma_f64 v[139:140], v[40:41], s[12:13], v[139:140]
	v_add_f64_e32 v[8:9], v[2:3], v[8:9]
	s_delay_alu instid0(VALU_DEP_2) | instskip(NEXT) | instid1(VALU_DEP_2)
	v_add_f64_e32 v[139:140], v[2:3], v[139:140]
	v_add_f64_e32 v[8:9], v[10:11], v[8:9]
	v_fma_f64 v[10:11], v[14:15], s[12:13], v[147:148]
	v_fma_f64 v[147:148], v[14:15], s[12:13], -v[147:148]
	s_delay_alu instid0(VALU_DEP_2) | instskip(NEXT) | instid1(VALU_DEP_2)
	v_add_f64_e32 v[10:11], v[0:1], v[10:11]
	v_add_f64_e32 v[147:148], v[0:1], v[147:148]
	s_delay_alu instid0(VALU_DEP_2) | instskip(SKIP_1) | instid1(VALU_DEP_1)
	v_add_f64_e32 v[10:11], v[151:152], v[10:11]
	v_fma_f64 v[151:152], v[32:33], s[0:1], -v[67:68]
	v_add_f64_e32 v[8:9], v[151:152], v[8:9]
	v_fma_f64 v[151:152], v[42:43], s[0:1], v[69:70]
	s_delay_alu instid0(VALU_DEP_1) | instskip(SKIP_1) | instid1(VALU_DEP_1)
	v_add_f64_e32 v[10:11], v[151:152], v[10:11]
	v_mul_f64_e32 v[151:152], s[26:27], v[34:35]
	v_fma_f64 v[153:154], v[28:29], s[4:5], -v[151:152]
	s_delay_alu instid0(VALU_DEP_1) | instskip(SKIP_3) | instid1(VALU_DEP_1)
	v_add_f64_e32 v[8:9], v[153:154], v[8:9]
	v_mul_f64_e32 v[153:154], s[26:27], v[56:57]
	s_mov_b32 s27, 0x3fcea1e5
	s_mov_b32 s26, s24
	v_fma_f64 v[155:156], v[22:23], s[4:5], v[153:154]
	s_delay_alu instid0(VALU_DEP_1) | instskip(SKIP_3) | instid1(VALU_DEP_2)
	v_add_f64_e32 v[10:11], v[155:156], v[10:11]
	s_wait_alu 0xfffe
	v_mul_f64_e32 v[155:156], s[26:27], v[24:25]
	v_mul_f64_e32 v[24:25], s[18:19], v[24:25]
	v_fma_f64 v[157:158], v[44:45], s[10:11], -v[155:156]
	s_delay_alu instid0(VALU_DEP_1) | instskip(SKIP_2) | instid1(VALU_DEP_2)
	v_add_f64_e32 v[8:9], v[157:158], v[8:9]
	v_mul_f64_e32 v[157:158], s[26:27], v[18:19]
	v_mul_f64_e32 v[18:19], s[18:19], v[18:19]
	v_fma_f64 v[159:160], v[54:55], s[10:11], v[157:158]
	s_delay_alu instid0(VALU_DEP_1) | instskip(SKIP_1) | instid1(VALU_DEP_1)
	v_add_f64_e32 v[159:160], v[159:160], v[10:11]
	v_fma_f64 v[10:11], v[4:5], s[2:3], -v[161:162]
	v_add_f64_e32 v[10:11], v[10:11], v[8:9]
	v_fma_f64 v[8:9], v[20:21], s[2:3], v[163:164]
	s_delay_alu instid0(VALU_DEP_1) | instskip(SKIP_1) | instid1(VALU_DEP_1)
	v_add_f64_e32 v[8:9], v[8:9], v[159:160]
	v_mad_co_u64_u32 v[159:160], null, s8, v165, 0
	v_mad_co_u64_u32 v[165:166], null, s9, v165, v[160:161]
	s_delay_alu instid0(VALU_DEP_1) | instskip(SKIP_2) | instid1(VALU_DEP_3)
	v_mov_b32_e32 v160, v165
	v_mul_f64_e32 v[165:166], s[20:21], v[30:31]
	v_mul_f64_e32 v[30:31], s[24:25], v[30:31]
	v_lshlrev_b64_e32 v[159:160], 4, v[159:160]
	s_delay_alu instid0(VALU_DEP_1) | instskip(SKIP_1) | instid1(VALU_DEP_2)
	v_add_co_u32 v159, vcc_lo, v6, v159
	s_wait_alu 0xfffd
	v_add_co_ci_u32_e32 v160, vcc_lo, v7, v160, vcc_lo
	global_store_b128 v[159:160], v[8:11], off
	v_mul_f64_e32 v[159:160], s[20:21], v[52:53]
	v_fma_f64 v[10:11], v[36:37], s[4:5], -v[48:49]
	s_delay_alu instid0(VALU_DEP_2) | instskip(NEXT) | instid1(VALU_DEP_1)
	v_fma_f64 v[8:9], v[40:41], s[6:7], -v[159:160]
	v_add_f64_e32 v[8:9], v[2:3], v[8:9]
	s_delay_alu instid0(VALU_DEP_1) | instskip(SKIP_1) | instid1(VALU_DEP_1)
	v_add_f64_e32 v[8:9], v[10:11], v[8:9]
	v_fma_f64 v[10:11], v[14:15], s[6:7], v[165:166]
	v_add_f64_e32 v[10:11], v[0:1], v[10:11]
	s_delay_alu instid0(VALU_DEP_1) | instskip(SKIP_1) | instid1(VALU_DEP_1)
	v_add_f64_e32 v[10:11], v[167:168], v[10:11]
	v_mul_f64_e32 v[167:168], s[22:23], v[16:17]
	v_fma_f64 v[169:170], v[32:33], s[2:3], -v[167:168]
	s_delay_alu instid0(VALU_DEP_1) | instskip(SKIP_1) | instid1(VALU_DEP_1)
	v_add_f64_e32 v[8:9], v[169:170], v[8:9]
	v_mul_f64_e32 v[169:170], s[22:23], v[46:47]
	v_fma_f64 v[171:172], v[42:43], s[2:3], v[169:170]
	s_delay_alu instid0(VALU_DEP_1) | instskip(SKIP_1) | instid1(VALU_DEP_1)
	v_add_f64_e32 v[10:11], v[171:172], v[10:11]
	v_mul_f64_e32 v[171:172], s[26:27], v[34:35]
	v_fma_f64 v[173:174], v[28:29], s[10:11], -v[171:172]
	s_delay_alu instid0(VALU_DEP_1) | instskip(SKIP_1) | instid1(VALU_DEP_1)
	v_add_f64_e32 v[8:9], v[173:174], v[8:9]
	v_mul_f64_e32 v[173:174], s[26:27], v[56:57]
	v_fma_f64 v[175:176], v[22:23], s[10:11], v[173:174]
	s_delay_alu instid0(VALU_DEP_1) | instskip(SKIP_1) | instid1(VALU_DEP_1)
	v_add_f64_e32 v[10:11], v[175:176], v[10:11]
	v_fma_f64 v[175:176], v[44:45], s[0:1], -v[63:64]
	v_add_f64_e32 v[8:9], v[175:176], v[8:9]
	v_fma_f64 v[175:176], v[54:55], s[0:1], v[65:66]
	s_delay_alu instid0(VALU_DEP_1) | instskip(SKIP_1) | instid1(VALU_DEP_1)
	v_add_f64_e32 v[175:176], v[175:176], v[10:11]
	v_fma_f64 v[10:11], v[4:5], s[12:13], -v[177:178]
	v_add_f64_e32 v[10:11], v[10:11], v[8:9]
	v_fma_f64 v[8:9], v[20:21], s[12:13], v[179:180]
	s_delay_alu instid0(VALU_DEP_1) | instskip(SKIP_1) | instid1(VALU_DEP_1)
	v_add_f64_e32 v[8:9], v[8:9], v[175:176]
	v_mad_co_u64_u32 v[175:176], null, s8, v181, 0
	v_mad_co_u64_u32 v[181:182], null, s9, v181, v[176:177]
	s_delay_alu instid0(VALU_DEP_1) | instskip(NEXT) | instid1(VALU_DEP_1)
	v_mov_b32_e32 v176, v181
	v_lshlrev_b64_e32 v[175:176], 4, v[175:176]
	s_delay_alu instid0(VALU_DEP_1) | instskip(SKIP_1) | instid1(VALU_DEP_2)
	v_add_co_u32 v175, vcc_lo, v6, v175
	s_wait_alu 0xfffd
	v_add_co_ci_u32_e32 v176, vcc_lo, v7, v176, vcc_lo
	global_store_b128 v[175:176], v[8:11], off
	v_mul_f64_e32 v[8:9], s[24:25], v[52:53]
	v_fma_f64 v[52:53], v[40:41], s[6:7], v[159:160]
	v_fma_f64 v[159:160], v[14:15], s[6:7], -v[165:166]
	s_delay_alu instid0(VALU_DEP_3)
	v_fma_f64 v[10:11], v[40:41], s[10:11], v[8:9]
	v_fma_f64 v[8:9], v[40:41], s[10:11], -v[8:9]
	v_fma_f64 v[40:41], v[40:41], s[0:1], v[79:80]
	v_fma_f64 v[79:80], v[14:15], s[10:11], -v[30:31]
	;; [unrolled: 2-line block ×3, first 2 shown]
	v_add_f64_e32 v[83:84], v[0:1], v[159:160]
	v_add_f64_e32 v[52:53], v[2:3], v[52:53]
	;; [unrolled: 1-line block ×8, first 2 shown]
	v_fma_f64 v[0:1], v[36:37], s[0:1], v[12:13]
	v_fma_f64 v[2:3], v[38:39], s[0:1], -v[60:61]
	v_fma_f64 v[12:13], v[36:37], s[0:1], -v[12:13]
	s_delay_alu instid0(VALU_DEP_3) | instskip(SKIP_1) | instid1(VALU_DEP_4)
	v_add_f64_e32 v[0:1], v[0:1], v[10:11]
	v_mul_f64_e32 v[10:11], s[20:21], v[16:17]
	v_add_f64_e32 v[2:3], v[2:3], v[79:80]
	s_delay_alu instid0(VALU_DEP_4) | instskip(SKIP_1) | instid1(VALU_DEP_4)
	v_add_f64_e32 v[8:9], v[12:13], v[8:9]
	v_fma_f64 v[12:13], v[38:39], s[0:1], v[60:61]
	v_fma_f64 v[14:15], v[32:33], s[6:7], v[10:11]
	v_fma_f64 v[10:11], v[32:33], s[6:7], -v[10:11]
	s_delay_alu instid0(VALU_DEP_3) | instskip(SKIP_1) | instid1(VALU_DEP_4)
	v_add_f64_e32 v[12:13], v[12:13], v[30:31]
	v_fma_f64 v[30:31], v[36:37], s[2:3], v[81:82]
	v_add_f64_e32 v[0:1], v[14:15], v[0:1]
	v_mul_f64_e32 v[14:15], s[20:21], v[46:47]
	v_add_f64_e32 v[8:9], v[10:11], v[8:9]
	s_delay_alu instid0(VALU_DEP_4) | instskip(SKIP_1) | instid1(VALU_DEP_4)
	v_add_f64_e32 v[30:31], v[30:31], v[40:41]
	v_fma_f64 v[40:41], v[28:29], s[0:1], v[71:72]
	v_fma_f64 v[16:17], v[42:43], s[6:7], -v[14:15]
	v_fma_f64 v[10:11], v[42:43], s[6:7], v[14:15]
	s_delay_alu instid0(VALU_DEP_2) | instskip(SKIP_1) | instid1(VALU_DEP_3)
	v_add_f64_e32 v[2:3], v[16:17], v[2:3]
	v_mul_f64_e32 v[16:17], s[14:15], v[34:35]
	v_add_f64_e32 v[10:11], v[10:11], v[12:13]
	s_delay_alu instid0(VALU_DEP_2) | instskip(SKIP_2) | instid1(VALU_DEP_3)
	v_fma_f64 v[34:35], v[28:29], s[2:3], v[16:17]
	v_fma_f64 v[12:13], v[28:29], s[2:3], -v[16:17]
	v_fma_f64 v[16:17], v[32:33], s[2:3], v[167:168]
	v_add_f64_e32 v[0:1], v[34:35], v[0:1]
	v_mul_f64_e32 v[34:35], s[14:15], v[56:57]
	s_delay_alu instid0(VALU_DEP_4) | instskip(SKIP_1) | instid1(VALU_DEP_3)
	v_add_f64_e32 v[8:9], v[12:13], v[8:9]
	v_mul_f64_e32 v[56:57], s[16:17], v[58:59]
	v_fma_f64 v[12:13], v[22:23], s[2:3], v[34:35]
	v_fma_f64 v[46:47], v[22:23], s[2:3], -v[34:35]
	s_delay_alu instid0(VALU_DEP_3) | instskip(SKIP_1) | instid1(VALU_DEP_4)
	v_fma_f64 v[14:15], v[20:21], s[4:5], v[56:57]
	v_fma_f64 v[34:35], v[38:39], s[10:11], -v[129:130]
	v_add_f64_e32 v[10:11], v[12:13], v[10:11]
	v_fma_f64 v[12:13], v[44:45], s[12:13], -v[24:25]
	v_add_f64_e32 v[2:3], v[46:47], v[2:3]
	v_fma_f64 v[46:47], v[44:45], s[12:13], v[24:25]
	v_fma_f64 v[24:25], v[32:33], s[0:1], v[67:68]
	v_add_f64_e32 v[34:35], v[34:35], v[127:128]
	v_add_f64_e32 v[8:9], v[12:13], v[8:9]
	v_fma_f64 v[12:13], v[54:55], s[12:13], v[18:19]
	v_add_f64_e32 v[0:1], v[46:47], v[0:1]
	v_fma_f64 v[46:47], v[54:55], s[12:13], -v[18:19]
	v_fma_f64 v[18:19], v[20:21], s[12:13], -v[179:180]
	s_delay_alu instid0(VALU_DEP_4) | instskip(SKIP_1) | instid1(VALU_DEP_4)
	v_add_f64_e32 v[12:13], v[12:13], v[10:11]
	v_fma_f64 v[10:11], v[4:5], s[4:5], -v[26:27]
	v_add_f64_e32 v[46:47], v[46:47], v[2:3]
	v_fma_f64 v[2:3], v[4:5], s[4:5], v[26:27]
	v_fma_f64 v[26:27], v[20:21], s[2:3], -v[163:164]
	s_delay_alu instid0(VALU_DEP_4)
	v_add_f64_e32 v[10:11], v[10:11], v[8:9]
	v_add_f64_e32 v[8:9], v[14:15], v[12:13]
	v_fma_f64 v[12:13], v[36:37], s[4:5], v[48:49]
	v_fma_f64 v[14:15], v[38:39], s[4:5], -v[50:51]
	v_add_f64_e32 v[2:3], v[2:3], v[0:1]
	v_fma_f64 v[0:1], v[20:21], s[4:5], -v[56:57]
	v_fma_f64 v[48:49], v[32:33], s[10:11], v[111:112]
	v_fma_f64 v[50:51], v[42:43], s[12:13], -v[133:134]
	v_fma_f64 v[56:57], v[28:29], s[6:7], v[115:116]
	v_add_f64_e32 v[12:13], v[12:13], v[52:53]
	v_add_f64_e32 v[14:15], v[14:15], v[83:84]
	v_fma_f64 v[52:53], v[42:43], s[10:11], -v[113:114]
	v_add_f64_e32 v[0:1], v[0:1], v[46:47]
	v_fma_f64 v[46:47], v[32:33], s[12:13], v[131:132]
	v_fma_f64 v[32:33], v[32:33], s[4:5], v[87:88]
	v_add_f64_e32 v[34:35], v[50:51], v[34:35]
	v_add_f64_e32 v[12:13], v[16:17], v[12:13]
	v_fma_f64 v[16:17], v[42:43], s[2:3], -v[169:170]
	s_delay_alu instid0(VALU_DEP_4) | instskip(NEXT) | instid1(VALU_DEP_2)
	v_add_f64_e32 v[30:31], v[32:33], v[30:31]
	v_add_f64_e32 v[14:15], v[16:17], v[14:15]
	v_fma_f64 v[16:17], v[28:29], s[10:11], v[171:172]
	s_delay_alu instid0(VALU_DEP_1) | instskip(SKIP_1) | instid1(VALU_DEP_1)
	v_add_f64_e32 v[12:13], v[16:17], v[12:13]
	v_fma_f64 v[16:17], v[22:23], s[10:11], -v[173:174]
	v_add_f64_e32 v[14:15], v[16:17], v[14:15]
	v_fma_f64 v[16:17], v[44:45], s[0:1], v[63:64]
	s_delay_alu instid0(VALU_DEP_1) | instskip(SKIP_1) | instid1(VALU_DEP_1)
	v_add_f64_e32 v[12:13], v[16:17], v[12:13]
	v_fma_f64 v[16:17], v[54:55], s[0:1], -v[65:66]
	v_add_f64_e32 v[16:17], v[16:17], v[14:15]
	v_fma_f64 v[14:15], v[4:5], s[12:13], v[177:178]
	s_delay_alu instid0(VALU_DEP_1) | instskip(NEXT) | instid1(VALU_DEP_3)
	v_add_f64_e32 v[14:15], v[14:15], v[12:13]
	v_add_f64_e32 v[12:13], v[18:19], v[16:17]
	v_fma_f64 v[16:17], v[36:37], s[6:7], v[145:146]
	v_fma_f64 v[18:19], v[38:39], s[6:7], -v[149:150]
	s_delay_alu instid0(VALU_DEP_2) | instskip(NEXT) | instid1(VALU_DEP_2)
	v_add_f64_e32 v[16:17], v[16:17], v[139:140]
	v_add_f64_e32 v[18:19], v[18:19], v[147:148]
	s_delay_alu instid0(VALU_DEP_2) | instskip(SKIP_2) | instid1(VALU_DEP_2)
	v_add_f64_e32 v[16:17], v[24:25], v[16:17]
	v_fma_f64 v[24:25], v[42:43], s[0:1], -v[69:70]
	v_fma_f64 v[42:43], v[42:43], s[4:5], -v[89:90]
	v_add_f64_e32 v[18:19], v[24:25], v[18:19]
	v_fma_f64 v[24:25], v[28:29], s[4:5], v[151:152]
	v_fma_f64 v[28:29], v[28:29], s[12:13], v[91:92]
	s_delay_alu instid0(VALU_DEP_2) | instskip(SKIP_1) | instid1(VALU_DEP_3)
	v_add_f64_e32 v[16:17], v[24:25], v[16:17]
	v_fma_f64 v[24:25], v[22:23], s[4:5], -v[153:154]
	v_add_f64_e32 v[28:29], v[28:29], v[30:31]
	v_fma_f64 v[30:31], v[4:5], s[6:7], v[141:142]
	s_delay_alu instid0(VALU_DEP_3) | instskip(SKIP_1) | instid1(VALU_DEP_1)
	v_add_f64_e32 v[18:19], v[24:25], v[18:19]
	v_fma_f64 v[24:25], v[44:45], s[10:11], v[155:156]
	v_add_f64_e32 v[16:17], v[24:25], v[16:17]
	v_fma_f64 v[24:25], v[54:55], s[10:11], -v[157:158]
	s_delay_alu instid0(VALU_DEP_1) | instskip(SKIP_1) | instid1(VALU_DEP_1)
	v_add_f64_e32 v[24:25], v[24:25], v[18:19]
	v_fma_f64 v[18:19], v[4:5], s[2:3], v[161:162]
	v_add_f64_e32 v[18:19], v[18:19], v[16:17]
	s_delay_alu instid0(VALU_DEP_3) | instskip(SKIP_4) | instid1(VALU_DEP_4)
	v_add_f64_e32 v[16:17], v[26:27], v[24:25]
	v_fma_f64 v[26:27], v[36:37], s[12:13], v[105:106]
	v_fma_f64 v[24:25], v[36:37], s[10:11], v[125:126]
	v_fma_f64 v[36:37], v[38:39], s[12:13], -v[109:110]
	v_fma_f64 v[38:39], v[38:39], s[2:3], -v[85:86]
	v_add_f64_e32 v[26:27], v[26:27], v[99:100]
	s_delay_alu instid0(VALU_DEP_4) | instskip(NEXT) | instid1(VALU_DEP_4)
	v_add_f64_e32 v[24:25], v[24:25], v[123:124]
	v_add_f64_e32 v[36:37], v[36:37], v[107:108]
	s_delay_alu instid0(VALU_DEP_4) | instskip(NEXT) | instid1(VALU_DEP_4)
	v_add_f64_e32 v[38:39], v[38:39], v[159:160]
	v_add_f64_e32 v[26:27], v[48:49], v[26:27]
	s_delay_alu instid0(VALU_DEP_4)
	v_add_f64_e32 v[24:25], v[46:47], v[24:25]
	v_fma_f64 v[46:47], v[22:23], s[0:1], -v[73:74]
	v_add_f64_e32 v[36:37], v[52:53], v[36:37]
	v_fma_f64 v[48:49], v[22:23], s[6:7], -v[117:118]
	v_fma_f64 v[22:23], v[22:23], s[12:13], -v[93:94]
	v_add_f64_e32 v[32:33], v[42:43], v[38:39]
	v_fma_f64 v[42:43], v[44:45], s[4:5], v[119:120]
	v_fma_f64 v[38:39], v[44:45], s[2:3], v[135:136]
	v_fma_f64 v[44:45], v[44:45], s[6:7], v[95:96]
	v_add_f64_e32 v[26:27], v[56:57], v[26:27]
	v_add_f64_e32 v[24:25], v[40:41], v[24:25]
	;; [unrolled: 1-line block ×3, first 2 shown]
	v_fma_f64 v[40:41], v[54:55], s[2:3], -v[137:138]
	v_add_f64_e32 v[36:37], v[48:49], v[36:37]
	v_fma_f64 v[46:47], v[54:55], s[4:5], -v[121:122]
	v_add_f64_e32 v[22:23], v[22:23], v[32:33]
	v_fma_f64 v[32:33], v[4:5], s[0:1], v[75:76]
	v_fma_f64 v[48:49], v[54:55], s[6:7], -v[97:98]
	v_fma_f64 v[4:5], v[4:5], s[10:11], v[101:102]
	v_add_f64_e32 v[28:29], v[44:45], v[28:29]
	v_add_f64_e32 v[26:27], v[42:43], v[26:27]
	;; [unrolled: 1-line block ×3, first 2 shown]
	v_fma_f64 v[38:39], v[20:21], s[6:7], -v[143:144]
	v_add_f64_e32 v[34:35], v[40:41], v[34:35]
	v_fma_f64 v[40:41], v[20:21], s[0:1], -v[77:78]
	v_add_f64_e32 v[36:37], v[46:47], v[36:37]
	v_add_nc_u32_e32 v47, 0x1b9, v62
	v_fma_f64 v[42:43], v[20:21], s[10:11], -v[103:104]
	v_add_f64_e32 v[44:45], v[48:49], v[22:23]
	v_add_nc_u32_e32 v48, 0x1f8, v62
	v_add_f64_e32 v[26:27], v[32:33], v[26:27]
	v_mad_co_u64_u32 v[32:33], null, s8, v47, 0
	v_add_nc_u32_e32 v46, 0x17a, v62
	v_add_f64_e32 v[22:23], v[30:31], v[24:25]
	v_add_f64_e32 v[20:21], v[38:39], v[34:35]
	;; [unrolled: 1-line block ×4, first 2 shown]
	v_mad_co_u64_u32 v[36:37], null, s8, v48, 0
	v_mov_b32_e32 v5, v33
	v_mad_co_u64_u32 v[34:35], null, s8, v46, 0
	v_add_f64_e32 v[28:29], v[42:43], v[44:45]
	v_add_nc_u32_e32 v42, 0x2b5, v62
	v_add_nc_u32_e32 v44, 0x2f4, v62
	s_delay_alu instid0(VALU_DEP_4) | instskip(NEXT) | instid1(VALU_DEP_1)
	v_mov_b32_e32 v4, v35
	v_mad_co_u64_u32 v[38:39], null, s9, v46, v[4:5]
	v_mad_co_u64_u32 v[4:5], null, s9, v47, v[5:6]
	v_mov_b32_e32 v5, v37
	s_delay_alu instid0(VALU_DEP_3) | instskip(NEXT) | instid1(VALU_DEP_2)
	v_mov_b32_e32 v35, v38
	v_mad_co_u64_u32 v[39:40], null, s9, v48, v[5:6]
	v_add_nc_u32_e32 v5, 0x237, v62
	v_mov_b32_e32 v33, v4
	s_delay_alu instid0(VALU_DEP_4) | instskip(NEXT) | instid1(VALU_DEP_3)
	v_lshlrev_b64_e32 v[34:35], 4, v[34:35]
	v_mad_co_u64_u32 v[40:41], null, s8, v5, 0
	v_mov_b32_e32 v37, v39
	s_delay_alu instid0(VALU_DEP_4) | instskip(NEXT) | instid1(VALU_DEP_4)
	v_lshlrev_b64_e32 v[32:33], 4, v[32:33]
	v_add_co_u32 v34, vcc_lo, v6, v34
	s_wait_alu 0xfffd
	v_add_co_ci_u32_e32 v35, vcc_lo, v7, v35, vcc_lo
	v_mov_b32_e32 v4, v41
	v_lshlrev_b64_e32 v[36:37], 4, v[36:37]
	v_add_co_u32 v32, vcc_lo, v6, v32
	s_wait_alu 0xfffd
	v_add_co_ci_u32_e32 v33, vcc_lo, v7, v33, vcc_lo
	v_mad_co_u64_u32 v[4:5], null, s9, v5, v[4:5]
	v_add_nc_u32_e32 v5, 0x276, v62
	v_add_co_u32 v36, vcc_lo, v6, v36
	s_wait_alu 0xfffd
	v_add_co_ci_u32_e32 v37, vcc_lo, v7, v37, vcc_lo
	s_delay_alu instid0(VALU_DEP_3) | instskip(SKIP_1) | instid1(VALU_DEP_1)
	v_mad_co_u64_u32 v[38:39], null, s8, v5, 0
	v_mov_b32_e32 v41, v4
	v_lshlrev_b64_e32 v[40:41], 4, v[40:41]
	s_delay_alu instid0(VALU_DEP_3) | instskip(NEXT) | instid1(VALU_DEP_1)
	v_mov_b32_e32 v4, v39
	v_mad_co_u64_u32 v[4:5], null, s9, v5, v[4:5]
	s_delay_alu instid0(VALU_DEP_3) | instskip(SKIP_1) | instid1(VALU_DEP_4)
	v_add_co_u32 v40, vcc_lo, v6, v40
	s_wait_alu 0xfffd
	v_add_co_ci_u32_e32 v41, vcc_lo, v7, v41, vcc_lo
	s_delay_alu instid0(VALU_DEP_3) | instskip(SKIP_1) | instid1(VALU_DEP_2)
	v_mov_b32_e32 v39, v4
	v_mad_co_u64_u32 v[4:5], null, s8, v42, 0
	v_lshlrev_b64_e32 v[38:39], 4, v[38:39]
	s_delay_alu instid0(VALU_DEP_2) | instskip(NEXT) | instid1(VALU_DEP_2)
	v_mad_co_u64_u32 v[42:43], null, s9, v42, v[5:6]
	v_add_co_u32 v38, vcc_lo, v6, v38
	s_wait_alu 0xfffd
	s_delay_alu instid0(VALU_DEP_3) | instskip(NEXT) | instid1(VALU_DEP_3)
	v_add_co_ci_u32_e32 v39, vcc_lo, v7, v39, vcc_lo
	v_mov_b32_e32 v5, v42
	v_mad_co_u64_u32 v[42:43], null, s8, v44, 0
	s_delay_alu instid0(VALU_DEP_2) | instskip(NEXT) | instid1(VALU_DEP_2)
	v_lshlrev_b64_e32 v[4:5], 4, v[4:5]
	v_mad_co_u64_u32 v[43:44], null, s9, v44, v[43:44]
	s_delay_alu instid0(VALU_DEP_2) | instskip(SKIP_1) | instid1(VALU_DEP_3)
	v_add_co_u32 v4, vcc_lo, v6, v4
	s_wait_alu 0xfffd
	v_add_co_ci_u32_e32 v5, vcc_lo, v7, v5, vcc_lo
	s_delay_alu instid0(VALU_DEP_3) | instskip(NEXT) | instid1(VALU_DEP_1)
	v_lshlrev_b64_e32 v[42:43], 4, v[42:43]
	v_add_co_u32 v6, vcc_lo, v6, v42
	s_wait_alu 0xfffd
	s_delay_alu instid0(VALU_DEP_2)
	v_add_co_ci_u32_e32 v7, vcc_lo, v7, v43, vcc_lo
	s_clause 0x6
	global_store_b128 v[34:35], v[8:11], off
	global_store_b128 v[32:33], v[0:3], off
	;; [unrolled: 1-line block ×7, first 2 shown]
	s_nop 0
	s_sendmsg sendmsg(MSG_DEALLOC_VGPRS)
	s_endpgm
	.section	.rodata,"a",@progbits
	.p2align	6, 0x0
	.amdhsa_kernel fft_rtc_back_len819_factors_9_7_13_wgs_117_tpt_117_dp_ip_CI_sbrr_dirReg
		.amdhsa_group_segment_fixed_size 0
		.amdhsa_private_segment_fixed_size 0
		.amdhsa_kernarg_size 88
		.amdhsa_user_sgpr_count 2
		.amdhsa_user_sgpr_dispatch_ptr 0
		.amdhsa_user_sgpr_queue_ptr 0
		.amdhsa_user_sgpr_kernarg_segment_ptr 1
		.amdhsa_user_sgpr_dispatch_id 0
		.amdhsa_user_sgpr_private_segment_size 0
		.amdhsa_wavefront_size32 1
		.amdhsa_uses_dynamic_stack 0
		.amdhsa_enable_private_segment 0
		.amdhsa_system_sgpr_workgroup_id_x 1
		.amdhsa_system_sgpr_workgroup_id_y 0
		.amdhsa_system_sgpr_workgroup_id_z 0
		.amdhsa_system_sgpr_workgroup_info 0
		.amdhsa_system_vgpr_workitem_id 0
		.amdhsa_next_free_vgpr 183
		.amdhsa_next_free_sgpr 35
		.amdhsa_reserve_vcc 1
		.amdhsa_float_round_mode_32 0
		.amdhsa_float_round_mode_16_64 0
		.amdhsa_float_denorm_mode_32 3
		.amdhsa_float_denorm_mode_16_64 3
		.amdhsa_fp16_overflow 0
		.amdhsa_workgroup_processor_mode 1
		.amdhsa_memory_ordered 1
		.amdhsa_forward_progress 0
		.amdhsa_round_robin_scheduling 0
		.amdhsa_exception_fp_ieee_invalid_op 0
		.amdhsa_exception_fp_denorm_src 0
		.amdhsa_exception_fp_ieee_div_zero 0
		.amdhsa_exception_fp_ieee_overflow 0
		.amdhsa_exception_fp_ieee_underflow 0
		.amdhsa_exception_fp_ieee_inexact 0
		.amdhsa_exception_int_div_zero 0
	.end_amdhsa_kernel
	.text
.Lfunc_end0:
	.size	fft_rtc_back_len819_factors_9_7_13_wgs_117_tpt_117_dp_ip_CI_sbrr_dirReg, .Lfunc_end0-fft_rtc_back_len819_factors_9_7_13_wgs_117_tpt_117_dp_ip_CI_sbrr_dirReg
                                        ; -- End function
	.section	.AMDGPU.csdata,"",@progbits
; Kernel info:
; codeLenInByte = 8616
; NumSgprs: 37
; NumVgprs: 183
; ScratchSize: 0
; MemoryBound: 1
; FloatMode: 240
; IeeeMode: 1
; LDSByteSize: 0 bytes/workgroup (compile time only)
; SGPRBlocks: 4
; VGPRBlocks: 22
; NumSGPRsForWavesPerEU: 37
; NumVGPRsForWavesPerEU: 183
; Occupancy: 8
; WaveLimiterHint : 1
; COMPUTE_PGM_RSRC2:SCRATCH_EN: 0
; COMPUTE_PGM_RSRC2:USER_SGPR: 2
; COMPUTE_PGM_RSRC2:TRAP_HANDLER: 0
; COMPUTE_PGM_RSRC2:TGID_X_EN: 1
; COMPUTE_PGM_RSRC2:TGID_Y_EN: 0
; COMPUTE_PGM_RSRC2:TGID_Z_EN: 0
; COMPUTE_PGM_RSRC2:TIDIG_COMP_CNT: 0
	.text
	.p2alignl 7, 3214868480
	.fill 96, 4, 3214868480
	.type	__hip_cuid_f177be42f23021f6,@object ; @__hip_cuid_f177be42f23021f6
	.section	.bss,"aw",@nobits
	.globl	__hip_cuid_f177be42f23021f6
__hip_cuid_f177be42f23021f6:
	.byte	0                               ; 0x0
	.size	__hip_cuid_f177be42f23021f6, 1

	.ident	"AMD clang version 19.0.0git (https://github.com/RadeonOpenCompute/llvm-project roc-6.4.0 25133 c7fe45cf4b819c5991fe208aaa96edf142730f1d)"
	.section	".note.GNU-stack","",@progbits
	.addrsig
	.addrsig_sym __hip_cuid_f177be42f23021f6
	.amdgpu_metadata
---
amdhsa.kernels:
  - .args:
      - .actual_access:  read_only
        .address_space:  global
        .offset:         0
        .size:           8
        .value_kind:     global_buffer
      - .offset:         8
        .size:           8
        .value_kind:     by_value
      - .actual_access:  read_only
        .address_space:  global
        .offset:         16
        .size:           8
        .value_kind:     global_buffer
      - .actual_access:  read_only
        .address_space:  global
        .offset:         24
        .size:           8
        .value_kind:     global_buffer
      - .offset:         32
        .size:           8
        .value_kind:     by_value
      - .actual_access:  read_only
        .address_space:  global
        .offset:         40
        .size:           8
        .value_kind:     global_buffer
      - .actual_access:  read_only
        .address_space:  global
        .offset:         48
        .size:           8
        .value_kind:     global_buffer
      - .offset:         56
        .size:           4
        .value_kind:     by_value
      - .actual_access:  read_only
        .address_space:  global
        .offset:         64
        .size:           8
        .value_kind:     global_buffer
      - .actual_access:  read_only
        .address_space:  global
        .offset:         72
        .size:           8
        .value_kind:     global_buffer
      - .address_space:  global
        .offset:         80
        .size:           8
        .value_kind:     global_buffer
    .group_segment_fixed_size: 0
    .kernarg_segment_align: 8
    .kernarg_segment_size: 88
    .language:       OpenCL C
    .language_version:
      - 2
      - 0
    .max_flat_workgroup_size: 117
    .name:           fft_rtc_back_len819_factors_9_7_13_wgs_117_tpt_117_dp_ip_CI_sbrr_dirReg
    .private_segment_fixed_size: 0
    .sgpr_count:     37
    .sgpr_spill_count: 0
    .symbol:         fft_rtc_back_len819_factors_9_7_13_wgs_117_tpt_117_dp_ip_CI_sbrr_dirReg.kd
    .uniform_work_group_size: 1
    .uses_dynamic_stack: false
    .vgpr_count:     183
    .vgpr_spill_count: 0
    .wavefront_size: 32
    .workgroup_processor_mode: 1
amdhsa.target:   amdgcn-amd-amdhsa--gfx1201
amdhsa.version:
  - 1
  - 2
...

	.end_amdgpu_metadata
